;; amdgpu-corpus repo=ROCm/rocFFT kind=compiled arch=gfx906 opt=O3
	.text
	.amdgcn_target "amdgcn-amd-amdhsa--gfx906"
	.amdhsa_code_object_version 6
	.protected	bluestein_single_fwd_len567_dim1_half_op_CI_CI ; -- Begin function bluestein_single_fwd_len567_dim1_half_op_CI_CI
	.globl	bluestein_single_fwd_len567_dim1_half_op_CI_CI
	.p2align	8
	.type	bluestein_single_fwd_len567_dim1_half_op_CI_CI,@function
bluestein_single_fwd_len567_dim1_half_op_CI_CI: ; @bluestein_single_fwd_len567_dim1_half_op_CI_CI
; %bb.0:
	s_load_dwordx4 s[8:11], s[4:5], 0x28
	v_mul_u32_u24_e32 v1, 0x411, v0
	v_add_u32_sdwa v10, s6, v1 dst_sel:DWORD dst_unused:UNUSED_PAD src0_sel:DWORD src1_sel:WORD_1
	v_mov_b32_e32 v11, 0
	s_waitcnt lgkmcnt(0)
	v_cmp_gt_u64_e32 vcc, s[8:9], v[10:11]
	s_and_saveexec_b64 s[0:1], vcc
	s_cbranch_execz .LBB0_15
; %bb.1:
	s_load_dwordx4 s[0:3], s[4:5], 0x18
	v_mov_b32_e32 v2, 63
	v_mul_lo_u16_sdwa v1, v1, v2 dst_sel:DWORD dst_unused:UNUSED_PAD src0_sel:WORD_1 src1_sel:DWORD
	v_sub_u16_e32 v40, v0, v1
	v_lshlrev_b32_e32 v33, 2, v40
	s_waitcnt lgkmcnt(0)
	s_load_dwordx4 s[12:15], s[0:1], 0x0
	s_waitcnt lgkmcnt(0)
	v_mad_u64_u32 v[0:1], s[0:1], s14, v10, 0
	v_mad_u64_u32 v[2:3], s[0:1], s12, v40, 0
	;; [unrolled: 1-line block ×3, first 2 shown]
	s_load_dwordx2 s[14:15], s[4:5], 0x0
	v_mad_u64_u32 v[5:6], s[0:1], s13, v40, v[3:4]
	v_mov_b32_e32 v1, v4
	v_lshlrev_b64 v[0:1], 2, v[0:1]
	v_mov_b32_e32 v6, s11
	v_mov_b32_e32 v3, v5
	v_add_co_u32_e32 v4, vcc, s10, v0
	v_addc_co_u32_e32 v5, vcc, v6, v1, vcc
	v_lshlrev_b64 v[0:1], 2, v[2:3]
	s_mul_i32 s0, s13, 0x51
	s_mul_hi_u32 s1, s12, 0x51
	v_add_co_u32_e32 v0, vcc, v4, v0
	s_add_i32 s1, s1, s0
	s_mul_i32 s0, s12, 0x51
	v_addc_co_u32_e32 v1, vcc, v5, v1, vcc
	s_lshl_b64 s[16:17], s[0:1], 2
	global_load_dword v2, v[0:1], off
	v_mov_b32_e32 v3, s17
	v_add_co_u32_e32 v0, vcc, s16, v0
	v_addc_co_u32_e32 v1, vcc, v1, v3, vcc
	s_waitcnt lgkmcnt(0)
	global_load_dword v41, v33, s[14:15]
	global_load_dword v4, v[0:1], off
	global_load_dword v39, v33, s[14:15] offset:324
	v_add_co_u32_e32 v0, vcc, s16, v0
	v_addc_co_u32_e32 v1, vcc, v1, v3, vcc
	global_load_dword v5, v[0:1], off
	global_load_dword v38, v33, s[14:15] offset:648
	v_add_co_u32_e32 v0, vcc, s16, v0
	v_addc_co_u32_e32 v1, vcc, v1, v3, vcc
	;; [unrolled: 4-line block ×5, first 2 shown]
	global_load_dword v3, v[0:1], off
	global_load_dword v34, v33, s[14:15] offset:1944
	s_load_dwordx2 s[6:7], s[4:5], 0x38
	s_load_dwordx4 s[8:11], s[2:3], 0x0
	v_mov_b32_e32 v9, s15
	v_add_co_u32_e32 v8, vcc, s14, v33
	v_addc_co_u32_e32 v9, vcc, 0, v9, vcc
	v_cmp_gt_u16_e64 s[0:1], 18, v40
	s_waitcnt vmcnt(13)
	v_lshrrev_b32_e32 v12, 16, v2
	s_waitcnt vmcnt(12)
	v_mul_f16_sdwa v13, v41, v2 dst_sel:DWORD dst_unused:UNUSED_PAD src0_sel:WORD_1 src1_sel:DWORD
	v_mul_f16_sdwa v14, v41, v12 dst_sel:DWORD dst_unused:UNUSED_PAD src0_sel:WORD_1 src1_sel:DWORD
	v_fma_f16 v12, v41, v12, -v13
	s_waitcnt vmcnt(11)
	v_lshrrev_b32_e32 v13, 16, v4
	s_waitcnt vmcnt(10)
	v_mul_f16_sdwa v15, v39, v4 dst_sel:DWORD dst_unused:UNUSED_PAD src0_sel:WORD_1 src1_sel:DWORD
	v_fma_f16 v2, v41, v2, v14
	v_mul_f16_sdwa v14, v39, v13 dst_sel:DWORD dst_unused:UNUSED_PAD src0_sel:WORD_1 src1_sel:DWORD
	v_fma_f16 v13, v39, v13, -v15
	s_waitcnt vmcnt(9)
	v_lshrrev_b32_e32 v15, 16, v5
	s_waitcnt vmcnt(8)
	v_mul_f16_sdwa v16, v38, v5 dst_sel:DWORD dst_unused:UNUSED_PAD src0_sel:WORD_1 src1_sel:DWORD
	v_pack_b32_f16 v2, v2, v12
	v_fma_f16 v4, v39, v4, v14
	v_mul_f16_sdwa v12, v38, v15 dst_sel:DWORD dst_unused:UNUSED_PAD src0_sel:WORD_1 src1_sel:DWORD
	v_fma_f16 v14, v38, v15, -v16
	s_waitcnt vmcnt(7)
	v_lshrrev_b32_e32 v15, 16, v6
	s_waitcnt vmcnt(6)
	v_mul_f16_sdwa v16, v37, v6 dst_sel:DWORD dst_unused:UNUSED_PAD src0_sel:WORD_1 src1_sel:DWORD
	v_pack_b32_f16 v4, v4, v13
	v_fma_f16 v5, v38, v5, v12
	v_mul_f16_sdwa v12, v37, v15 dst_sel:DWORD dst_unused:UNUSED_PAD src0_sel:WORD_1 src1_sel:DWORD
	v_fma_f16 v13, v37, v15, -v16
	s_waitcnt vmcnt(5)
	v_lshrrev_b32_e32 v15, 16, v7
	ds_write2_b32 v33, v2, v4 offset1:81
	v_fma_f16 v4, v37, v6, v12
	s_waitcnt vmcnt(4)
	v_mul_f16_sdwa v16, v36, v7 dst_sel:DWORD dst_unused:UNUSED_PAD src0_sel:WORD_1 src1_sel:DWORD
	v_pack_b32_f16 v2, v5, v14
	v_mul_f16_sdwa v5, v36, v15 dst_sel:DWORD dst_unused:UNUSED_PAD src0_sel:WORD_1 src1_sel:DWORD
	v_pack_b32_f16 v4, v4, v13
	v_fma_f16 v6, v36, v15, -v16
	v_fma_f16 v5, v36, v7, v5
	ds_write2_b32 v33, v2, v4 offset0:162 offset1:243
	s_waitcnt vmcnt(3)
	v_lshrrev_b32_e32 v4, 16, v11
	v_pack_b32_f16 v2, v5, v6
	s_waitcnt vmcnt(2)
	v_mul_f16_sdwa v5, v35, v4 dst_sel:DWORD dst_unused:UNUSED_PAD src0_sel:WORD_1 src1_sel:DWORD
	v_mul_f16_sdwa v6, v35, v11 dst_sel:DWORD dst_unused:UNUSED_PAD src0_sel:WORD_1 src1_sel:DWORD
	v_fma_f16 v5, v35, v11, v5
	v_fma_f16 v4, v35, v4, -v6
	v_pack_b32_f16 v5, v5, v4
	v_add_u32_e32 v4, 0x400, v33
	ds_write2_b32 v4, v2, v5 offset0:68 offset1:149
	s_waitcnt vmcnt(1)
	v_lshrrev_b32_e32 v2, 16, v3
	s_waitcnt vmcnt(0)
	v_mul_f16_sdwa v5, v34, v2 dst_sel:DWORD dst_unused:UNUSED_PAD src0_sel:WORD_1 src1_sel:DWORD
	v_fma_f16 v5, v34, v3, v5
	v_mul_f16_sdwa v3, v34, v3 dst_sel:DWORD dst_unused:UNUSED_PAD src0_sel:WORD_1 src1_sel:DWORD
	v_fma_f16 v2, v34, v2, -v3
	v_pack_b32_f16 v2, v5, v2
	ds_write_b32 v33, v2 offset:1944
	s_and_saveexec_b64 s[2:3], s[0:1]
	s_cbranch_execz .LBB0_3
; %bb.2:
	v_mov_b32_e32 v2, 0xfffff964
	v_mad_u64_u32 v[0:1], s[18:19], s12, v2, v[0:1]
	s_mulk_i32 s13, 0xf964
	s_sub_i32 s12, s13, s12
	v_add_u32_e32 v1, s12, v1
	global_load_dword v2, v[0:1], off
	global_load_dword v3, v[8:9], off offset:252
	v_mov_b32_e32 v5, s17
	v_add_co_u32_e32 v0, vcc, s16, v0
	v_addc_co_u32_e32 v1, vcc, v1, v5, vcc
	global_load_dword v6, v[0:1], off
	global_load_dword v7, v[8:9], off offset:576
	v_add_co_u32_e32 v0, vcc, s16, v0
	v_addc_co_u32_e32 v1, vcc, v1, v5, vcc
	global_load_dword v11, v[0:1], off
	global_load_dword v12, v[8:9], off offset:900
	;; [unrolled: 4-line block ×6, first 2 shown]
	v_add_u32_e32 v0, 0x200, v33
	s_waitcnt vmcnt(13)
	v_lshrrev_b32_e32 v1, 16, v2
	s_waitcnt vmcnt(12)
	v_mul_f16_sdwa v20, v3, v2 dst_sel:DWORD dst_unused:UNUSED_PAD src0_sel:WORD_1 src1_sel:DWORD
	v_mul_f16_sdwa v21, v3, v1 dst_sel:DWORD dst_unused:UNUSED_PAD src0_sel:WORD_1 src1_sel:DWORD
	v_fma_f16 v1, v3, v1, -v20
	v_fma_f16 v2, v3, v2, v21
	v_pack_b32_f16 v1, v2, v1
	s_waitcnt vmcnt(11)
	v_lshrrev_b32_e32 v20, 16, v6
	s_waitcnt vmcnt(10)
	v_mul_f16_sdwa v22, v7, v6 dst_sel:DWORD dst_unused:UNUSED_PAD src0_sel:WORD_1 src1_sel:DWORD
	v_mul_f16_sdwa v3, v7, v20 dst_sel:DWORD dst_unused:UNUSED_PAD src0_sel:WORD_1 src1_sel:DWORD
	v_fma_f16 v20, v7, v20, -v22
	v_fma_f16 v2, v7, v6, v3
	s_waitcnt vmcnt(9)
	v_lshrrev_b32_e32 v21, 16, v11
	s_waitcnt vmcnt(8)
	v_mul_f16_sdwa v22, v12, v11 dst_sel:DWORD dst_unused:UNUSED_PAD src0_sel:WORD_1 src1_sel:DWORD
	v_mul_f16_sdwa v3, v12, v21 dst_sel:DWORD dst_unused:UNUSED_PAD src0_sel:WORD_1 src1_sel:DWORD
	v_fma_f16 v6, v12, v21, -v22
	v_pack_b32_f16 v2, v2, v20
	s_waitcnt vmcnt(7)
	v_lshrrev_b32_e32 v7, 16, v13
	s_waitcnt vmcnt(6)
	v_mul_f16_sdwa v21, v14, v13 dst_sel:DWORD dst_unused:UNUSED_PAD src0_sel:WORD_1 src1_sel:DWORD
	v_fma_f16 v3, v12, v11, v3
	v_mul_f16_sdwa v11, v14, v7 dst_sel:DWORD dst_unused:UNUSED_PAD src0_sel:WORD_1 src1_sel:DWORD
	v_fma_f16 v7, v14, v7, -v21
	s_waitcnt vmcnt(5)
	v_lshrrev_b32_e32 v12, 16, v15
	s_waitcnt vmcnt(4)
	v_mul_f16_sdwa v20, v16, v15 dst_sel:DWORD dst_unused:UNUSED_PAD src0_sel:WORD_1 src1_sel:DWORD
	ds_write2_b32 v33, v1, v2 offset0:63 offset1:144
	v_pack_b32_f16 v1, v3, v6
	v_fma_f16 v2, v14, v13, v11
	v_mul_f16_sdwa v3, v16, v12 dst_sel:DWORD dst_unused:UNUSED_PAD src0_sel:WORD_1 src1_sel:DWORD
	v_fma_f16 v6, v16, v12, -v20
	s_waitcnt vmcnt(3)
	v_lshrrev_b32_e32 v11, 16, v17
	s_waitcnt vmcnt(2)
	v_mul_f16_sdwa v12, v18, v17 dst_sel:DWORD dst_unused:UNUSED_PAD src0_sel:WORD_1 src1_sel:DWORD
	v_pack_b32_f16 v2, v2, v7
	v_mul_f16_sdwa v7, v18, v11 dst_sel:DWORD dst_unused:UNUSED_PAD src0_sel:WORD_1 src1_sel:DWORD
	v_fma_f16 v11, v18, v11, -v12
	s_waitcnt vmcnt(1)
	v_lshrrev_b32_e32 v12, 16, v5
	v_fma_f16 v3, v16, v15, v3
	s_waitcnt vmcnt(0)
	v_mul_f16_sdwa v13, v19, v5 dst_sel:DWORD dst_unused:UNUSED_PAD src0_sel:WORD_1 src1_sel:DWORD
	ds_write2_b32 v0, v1, v2 offset0:97 offset1:178
	v_fma_f16 v1, v18, v17, v7
	v_mul_f16_sdwa v2, v19, v12 dst_sel:DWORD dst_unused:UNUSED_PAD src0_sel:WORD_1 src1_sel:DWORD
	v_pack_b32_f16 v0, v3, v6
	v_fma_f16 v3, v19, v12, -v13
	v_pack_b32_f16 v1, v1, v11
	v_fma_f16 v2, v19, v5, v2
	ds_write2_b32 v4, v0, v1 offset0:131 offset1:212
	v_pack_b32_f16 v0, v2, v3
	ds_write_b32 v33, v0 offset:2196
.LBB0_3:
	s_or_b64 exec, exec, s[2:3]
	s_waitcnt lgkmcnt(0)
	; wave barrier
	s_waitcnt lgkmcnt(0)
	ds_read2_b32 v[2:3], v33 offset1:81
	ds_read2_b32 v[0:1], v33 offset0:162 offset1:243
	ds_read2_b32 v[4:5], v4 offset0:68 offset1:149
	ds_read_b32 v15, v33 offset:1944
	s_load_dwordx2 s[2:3], s[4:5], 0x8
	v_mov_b32_e32 v7, 0
	v_mov_b32_e32 v11, 0
	;; [unrolled: 1-line block ×4, first 2 shown]
                                        ; implicit-def: $vgpr16
	s_and_saveexec_b64 s[4:5], s[0:1]
	s_cbranch_execz .LBB0_5
; %bb.4:
	v_add_u32_e32 v6, 0x200, v33
	ds_read2_b32 v[11:12], v6 offset0:97 offset1:178
	v_add_u32_e32 v6, 0x400, v33
	ds_read2_b32 v[13:14], v6 offset0:131 offset1:212
	ds_read_b32 v16, v33 offset:2196
	ds_read2_b32 v[6:7], v33 offset0:63 offset1:144
.LBB0_5:
	s_or_b64 exec, exec, s[4:5]
	s_waitcnt lgkmcnt(0)
	v_pk_add_f16 v21, v16, v7
	v_pk_add_f16 v7, v7, v16 neg_lo:[0,1] neg_hi:[0,1]
	v_pk_add_f16 v16, v14, v11
	v_pk_add_f16 v11, v11, v14 neg_lo:[0,1] neg_hi:[0,1]
	;; [unrolled: 2-line block ×4, first 2 shown]
	v_pk_add_f16 v21, v21, v14 neg_lo:[0,1] neg_hi:[0,1]
	v_pk_add_f16 v16, v14, v16 neg_lo:[0,1] neg_hi:[0,1]
	v_pk_add_f16 v23, v11, v12 op_sel:[1,1] op_sel_hi:[0,0]
	v_pk_add_f16 v24, v12, v11 op_sel:[1,1] op_sel_hi:[0,0] neg_lo:[0,1] neg_hi:[0,1]
	v_pk_add_f16 v11, v11, v7 op_sel:[1,1] op_sel_hi:[0,0] neg_lo:[0,1] neg_hi:[0,1]
	v_pk_add_f16 v13, v13, v14
	s_movk_i32 s4, 0x3a52
	s_movk_i32 s5, 0x2b26
	s_mov_b32 s13, 0xb846
	s_movk_i32 s16, 0x3b00
	v_pk_add_f16 v12, v7, v12 op_sel:[1,1] op_sel_hi:[0,0] neg_lo:[0,1] neg_hi:[0,1]
	v_pk_add_f16 v7, v7, v23 op_sel:[1,0] op_sel_hi:[0,1]
	v_pk_add_f16 v6, v13, v6
	v_pk_mul_f16 v14, v21, s4 op_sel_hi:[1,0]
	v_pk_mul_f16 v21, v16, s5 op_sel_hi:[1,0]
	;; [unrolled: 1-line block ×4, first 2 shown]
	s_movk_i32 s17, 0x3cab
	s_movk_i32 s18, 0x39e0
	s_movk_i32 s19, 0x3574
	v_pk_fma_f16 v13, v13, s17, v6 op_sel_hi:[1,0,1] neg_lo:[1,0,0] neg_hi:[1,0,0]
	v_pk_fma_f16 v16, v16, s5, v14 op_sel_hi:[1,0,1]
	v_pk_fma_f16 v21, v22, s18, v21 op_sel_hi:[1,0,1] neg_lo:[0,0,1] neg_hi:[0,0,1]
	v_pk_fma_f16 v14, v22, s18, v14 op_sel_hi:[1,0,1] neg_lo:[1,0,1] neg_hi:[1,0,1]
	v_pk_fma_f16 v22, v12, s19, v23 op_sel_hi:[1,0,1]
	v_pk_fma_f16 v11, v11, s16, v23 op_sel_hi:[1,0,1] neg_lo:[0,0,1] neg_hi:[0,0,1]
	v_pk_fma_f16 v12, v12, s19, v24 op_sel_hi:[1,0,1] neg_lo:[1,0,1] neg_hi:[1,0,1]
	s_movk_i32 s20, 0x370e
	v_pk_add_f16 v16, v16, v13
	v_pk_add_f16 v21, v21, v13
	;; [unrolled: 1-line block ×3, first 2 shown]
	v_pk_fma_f16 v22, v7, s20, v22 op_sel_hi:[1,0,1]
	v_pk_fma_f16 v14, v7, s20, v11 op_sel_hi:[1,0,1]
	;; [unrolled: 1-line block ×3, first 2 shown]
	v_pk_add_f16 v17, v3, v15
	v_pk_add_f16 v18, v0, v5
	;; [unrolled: 1-line block ×3, first 2 shown]
	v_pk_add_f16 v7, v13, v7 neg_lo:[0,1] neg_hi:[0,1]
	v_pk_add_f16 v13, v21, v14 neg_lo:[0,1] neg_hi:[0,1]
	v_pk_add_f16 v14, v21, v14
	v_mul_lo_u16_e32 v21, 7, v40
	v_pk_add_f16 v20, v1, v4
	s_mov_b32 s12, 0xffff
	v_lshlrev_b32_e32 v43, 2, v21
	v_pk_add_f16 v21, v18, v17
	v_pk_add_f16 v3, v3, v15 neg_lo:[0,1] neg_hi:[0,1]
	v_pk_add_f16 v0, v0, v5 neg_lo:[0,1] neg_hi:[0,1]
	v_bfi_b32 v11, s12, v23, v7
	v_bfi_b32 v12, s12, v13, v14
	;; [unrolled: 1-line block ×4, first 2 shown]
	v_pk_add_f16 v7, v16, v22 neg_lo:[0,1] neg_hi:[0,1]
	v_pk_add_f16 v16, v16, v22
	v_pk_add_f16 v21, v20, v21
	v_pk_add_f16 v1, v4, v1 neg_lo:[0,1] neg_hi:[0,1]
	v_pk_add_f16 v4, v18, v17 neg_lo:[0,1] neg_hi:[0,1]
	;; [unrolled: 1-line block ×4, first 2 shown]
	v_pk_add_f16 v2, v2, v21
	v_pk_add_f16 v15, v1, v0
	v_pk_add_f16 v17, v3, v1 neg_lo:[0,1] neg_hi:[0,1]
	v_pk_mul_f16 v5, v5, s4 op_sel_hi:[1,0]
	v_pk_mul_f16 v4, v4, s18 op_sel_hi:[1,0]
	;; [unrolled: 1-line block ×3, first 2 shown]
	v_pk_add_f16 v18, v20, v18 neg_lo:[0,1] neg_hi:[0,1]
	v_pk_add_f16 v0, v1, v0 neg_lo:[0,1] neg_hi:[0,1]
	v_pk_add_f16 v3, v15, v3
	v_pk_mul_f16 v15, v17, s19 op_sel_hi:[1,0]
	v_pk_add_f16 v23, v5, v4 op_sel:[1,1] op_sel_hi:[0,0] neg_lo:[1,1] neg_hi:[1,1]
	v_pk_fma_f16 v17, v17, s19, v22 op_sel_hi:[1,0,1] neg_lo:[1,0,1] neg_hi:[1,0,1]
	v_pk_fma_f16 v21, v21, s17, v2 op_sel_hi:[1,0,1] neg_lo:[1,0,0] neg_hi:[1,0,0]
	;; [unrolled: 1-line block ×4, first 2 shown]
	v_pk_fma_f16 v17, v3, s20, v17 op_sel_hi:[1,0,1]
	v_pk_add_f16 v23, v23, v21 op_sel:[0,1] op_sel_hi:[1,0]
	v_pk_fma_f16 v4, v3, s20, v4 op_sel_hi:[1,0,1]
	v_pk_add_f16 v1, v1, v21
	v_pk_add_f16 v24, v23, v17
	v_pk_add_f16 v17, v23, v17 neg_lo:[0,1] neg_hi:[0,1]
	v_pk_add_f16 v20, v1, v4 op_sel:[0,1] op_sel_hi:[1,0] neg_lo:[0,1] neg_hi:[0,1]
	v_pk_add_f16 v1, v1, v4 op_sel:[0,1] op_sel_hi:[1,0]
	v_alignbit_b32 v23, v17, v24, 16
	v_bfi_b32 v4, s12, v20, v1
	s_waitcnt lgkmcnt(0)
	; wave barrier
	ds_write2_b32 v43, v23, v4 offset0:2 offset1:3
	v_bfi_b32 v1, s12, v1, v20
	v_alignbit_b32 v4, v24, v17, 16
	ds_write2_b32 v43, v1, v4 offset0:4 offset1:5
	v_pk_fma_f16 v1, v18, s5, v5 op_sel_hi:[1,0,1]
	v_pk_fma_f16 v0, v0, s13, v15 op_sel_hi:[1,0,1]
	;; [unrolled: 1-line block ×3, first 2 shown]
	v_pk_add_f16 v1, v1, v21
	v_add_co_u32_e32 v19, vcc, 63, v40
	v_pk_add_f16 v3, v1, v0 op_sel:[0,1] op_sel_hi:[1,0]
	v_pk_add_f16 v0, v1, v0 op_sel:[0,1] op_sel_hi:[1,0] neg_lo:[0,1] neg_hi:[0,1]
	v_bfi_b32 v42, s12, v7, v16
	v_bfi_b32 v1, s12, v0, v3
	;; [unrolled: 1-line block ×3, first 2 shown]
	v_mul_u32_u24_e32 v44, 7, v19
	ds_write2_b32 v43, v2, v0 offset1:1
	ds_write_b32 v43, v1 offset:24
	s_and_saveexec_b64 s[4:5], s[0:1]
	s_cbranch_execz .LBB0_7
; %bb.6:
	v_lshlrev_b32_e32 v0, 2, v44
	v_bfi_b32 v1, s12, v16, v7
	ds_write2_b32 v0, v6, v1 offset1:1
	ds_write2_b32 v0, v11, v12 offset0:2 offset1:3
	ds_write2_b32 v0, v13, v14 offset0:4 offset1:5
	ds_write_b32 v0, v42 offset:24
.LBB0_7:
	s_or_b64 exec, exec, s[4:5]
	v_mov_b32_e32 v0, 37
	v_mul_lo_u16_sdwa v0, v40, v0 dst_sel:DWORD dst_unused:UNUSED_PAD src0_sel:BYTE_0 src1_sel:DWORD
	v_sub_u16_sdwa v1, v40, v0 dst_sel:DWORD dst_unused:UNUSED_PAD src0_sel:DWORD src1_sel:BYTE_1
	v_lshrrev_b16_e32 v1, 1, v1
	v_and_b32_e32 v1, 0x7f, v1
	v_add_u16_sdwa v0, v1, v0 dst_sel:DWORD dst_unused:UNUSED_PAD src0_sel:DWORD src1_sel:BYTE_1
	v_lshrrev_b16_e32 v22, 2, v0
	v_mul_lo_u16_e32 v0, 7, v22
	v_sub_u16_e32 v0, v40, v0
	v_and_b32_e32 v23, 0xff, v0
	v_lshlrev_b32_e32 v15, 5, v23
	s_waitcnt lgkmcnt(0)
	; wave barrier
	s_waitcnt lgkmcnt(0)
	global_load_dwordx4 v[0:3], v15, s[2:3]
	global_load_dwordx4 v[4:7], v15, s[2:3] offset:16
	ds_read2_b32 v[15:16], v33 offset0:126 offset1:189
	v_add_u32_e32 v27, 0x200, v33
	v_add_u32_e32 v31, 0x400, v33
	ds_read2_b32 v[17:18], v27 offset0:124 offset1:187
	ds_read2_b32 v[20:21], v31 offset0:122 offset1:185
	s_waitcnt lgkmcnt(2)
	v_lshrrev_b32_e32 v24, 16, v15
	v_lshrrev_b32_e32 v25, 16, v16
	s_movk_i32 s13, 0x3a21
	s_waitcnt lgkmcnt(1)
	v_lshrrev_b32_e32 v26, 16, v17
	s_waitcnt lgkmcnt(0)
	v_lshrrev_b32_e32 v29, 16, v20
	v_lshrrev_b32_e32 v30, 16, v21
	;; [unrolled: 1-line block ×3, first 2 shown]
	s_movk_i32 s16, 0x318f
	s_mov_b32 s17, 0xbb84
	s_movk_i32 s18, 0x3be1
	s_movk_i32 s4, 0x3aee
	;; [unrolled: 1-line block ×3, first 2 shown]
	s_mov_b32 s5, 0xbaee
	s_mov_b32 s20, 0xb924
	v_mul_u32_u24_e32 v22, 63, v22
	v_lshlrev_b32_e32 v19, 3, v19
	s_waitcnt vmcnt(1)
	v_mul_f16_sdwa v32, v24, v1 dst_sel:DWORD dst_unused:UNUSED_PAD src0_sel:DWORD src1_sel:WORD_1
	v_mul_f16_sdwa v46, v25, v2 dst_sel:DWORD dst_unused:UNUSED_PAD src0_sel:DWORD src1_sel:WORD_1
	;; [unrolled: 1-line block ×5, first 2 shown]
	v_fma_f16 v32, v15, v1, -v32
	v_fma_f16 v46, v16, v2, -v46
	s_waitcnt vmcnt(0)
	v_mul_f16_sdwa v15, v29, v5 dst_sel:DWORD dst_unused:UNUSED_PAD src0_sel:DWORD src1_sel:WORD_1
	v_mul_f16_sdwa v16, v30, v6 dst_sel:DWORD dst_unused:UNUSED_PAD src0_sel:DWORD src1_sel:WORD_1
	;; [unrolled: 1-line block ×4, first 2 shown]
	v_fma_f16 v17, v17, v3, -v48
	v_mul_f16_sdwa v48, v21, v6 dst_sel:DWORD dst_unused:UNUSED_PAD src0_sel:DWORD src1_sel:WORD_1
	v_fma_f16 v20, v20, v5, -v15
	v_fma_f16 v21, v21, v6, -v16
	ds_read2_b32 v[15:16], v33 offset1:63
	v_fma_f16 v24, v24, v1, v45
	ds_read_b32 v45, v33 offset:2016
	v_mul_f16_sdwa v50, v28, v4 dst_sel:DWORD dst_unused:UNUSED_PAD src0_sel:DWORD src1_sel:WORD_1
	v_mul_f16_sdwa v51, v18, v4 dst_sel:DWORD dst_unused:UNUSED_PAD src0_sel:DWORD src1_sel:WORD_1
	v_fma_f16 v18, v18, v4, -v50
	v_fma_f16 v25, v25, v2, v47
	s_waitcnt lgkmcnt(1)
	v_lshrrev_b32_e32 v47, 16, v16
	v_fma_f16 v26, v26, v3, v49
	s_waitcnt lgkmcnt(0)
	v_lshrrev_b32_e32 v49, 16, v45
	v_mul_f16_sdwa v50, v16, v0 dst_sel:DWORD dst_unused:UNUSED_PAD src0_sel:DWORD src1_sel:WORD_1
	v_fma_f16 v28, v28, v4, v51
	v_mul_f16_sdwa v51, v47, v0 dst_sel:DWORD dst_unused:UNUSED_PAD src0_sel:DWORD src1_sel:WORD_1
	v_fma_f16 v47, v47, v0, v50
	v_mul_f16_sdwa v50, v49, v7 dst_sel:DWORD dst_unused:UNUSED_PAD src0_sel:DWORD src1_sel:WORD_1
	v_fma_f16 v30, v30, v6, v48
	v_mul_f16_sdwa v48, v45, v7 dst_sel:DWORD dst_unused:UNUSED_PAD src0_sel:DWORD src1_sel:WORD_1
	v_fma_f16 v45, v45, v7, -v50
	v_fma_f16 v16, v16, v0, -v51
	v_fma_f16 v48, v49, v7, v48
	v_fma_f16 v29, v29, v5, v52
	v_add_f16_e32 v49, v16, v45
	v_sub_f16_e32 v16, v16, v45
	v_add_f16_e32 v45, v47, v48
	v_sub_f16_e32 v47, v47, v48
	;; [unrolled: 2-line block ×6, first 2 shown]
	v_add_f16_e32 v29, v48, v49
	v_add_f16_e32 v50, v30, v29
	;; [unrolled: 1-line block ×3, first 2 shown]
	v_sub_f16_e32 v51, v17, v18
	v_add_f16_e32 v17, v17, v18
	v_fma_f16 v53, v17, s13, v15
	v_fma_f16 v53, v49, s16, v53
	v_add_f16_e32 v18, v18, v50
	v_fma_f16 v52, v49, s13, v15
	v_fma_f16 v53, v30, -0.5, v53
	v_add_f16_e32 v18, v18, v15
	v_lshrrev_b32_e32 v50, 16, v15
	v_add_f16_e32 v54, v30, v15
	v_fma_f16 v15, v48, s13, v15
	v_add_f16_e32 v29, v17, v29
	v_fma_f16 v52, v48, s16, v52
	v_fma_f16 v48, v48, s17, v53
	v_add_f16_e32 v53, v26, v28
	v_add_f16_e32 v55, v32, v45
	v_fma_f16 v29, v29, -0.5, v54
	v_add_f16_e32 v54, v46, v50
	v_add_f16_e32 v56, v53, v55
	v_fma_f16 v54, v56, -0.5, v54
	v_mul_f16_e32 v56, 0x3924, v16
	v_fma_f16 v56, v21, s18, v56
	v_mul_f16_e32 v57, 0xb924, v51
	v_fma_f16 v56, v20, s4, v56
	v_fma_f16 v57, v16, s18, v57
	;; [unrolled: 1-line block ×4, first 2 shown]
	v_add_f16_e32 v58, v51, v16
	v_mul_f16_e32 v51, 0x3be1, v51
	v_fma_f16 v57, v21, s19, v57
	v_sub_f16_e32 v58, v58, v21
	v_fma_f16 v21, v21, s20, -v51
	v_mul_f16_e32 v51, 0x3924, v47
	v_sub_f16_e32 v59, v26, v28
	v_fma_f16 v51, v24, s18, v51
	v_mul_f16_e32 v60, 0xb924, v59
	v_fma_f16 v51, v25, s4, v51
	v_fma_f16 v60, v47, s18, v60
	;; [unrolled: 1-line block ×4, first 2 shown]
	v_add_f16_e32 v61, v59, v47
	v_mul_f16_e32 v59, 0x3be1, v59
	v_fma_f16 v60, v24, s19, v60
	v_sub_f16_e32 v61, v61, v24
	v_fma_f16 v24, v24, s20, -v59
	v_fma_f16 v20, v20, s4, v21
	v_fma_f16 v21, v25, s4, v24
	;; [unrolled: 1-line block ×4, first 2 shown]
	v_add_f16_e32 v21, v46, v55
	v_add_f16_e32 v21, v26, v21
	v_fma_f16 v24, v45, s13, v50
	v_add_f16_e32 v21, v28, v21
	v_fma_f16 v24, v32, s16, v24
	v_fma_f16 v26, v32, s13, v50
	v_fma_f16 v28, v30, -0.5, v52
	v_fma_f16 v25, v53, s13, v50
	v_fma_f16 v28, v17, s17, v28
	v_fma_f16 v15, v17, s16, v15
	v_fma_f16 v17, v46, -0.5, v24
	v_fma_f16 v24, v53, s16, v26
	v_fma_f16 v25, v45, s16, v25
	v_fma_f16 v15, v30, -0.5, v15
	v_fma_f16 v24, v46, -0.5, v24
	;; [unrolled: 1-line block ×3, first 2 shown]
	v_fma_f16 v15, v49, s17, v15
	v_fma_f16 v24, v45, s17, v24
	;; [unrolled: 1-line block ×3, first 2 shown]
	v_add_f16_e32 v15, v20, v15
	v_sub_f16_e32 v24, v24, v16
	v_add_f16_e32 v21, v21, v50
	v_fma_f16 v17, v53, s17, v17
	v_add_f16_e32 v32, v60, v48
	v_sub_f16_e32 v25, v25, v57
	v_fma_f16 v48, v58, s5, v54
	v_mul_f16_e32 v49, 0x3aee, v58
	v_fma_f16 v29, v61, s4, v29
	v_mul_f16_e32 v50, 0x3aee, v61
	v_fma_f16 v20, v20, -2.0, v15
	v_fma_f16 v16, v16, 2.0, v24
	v_add_f16_e32 v26, v51, v28
	v_sub_f16_e32 v17, v17, v56
	v_fma_f16 v46, v60, -2.0, v32
	v_fma_f16 v47, v57, 2.0, v25
	v_fma_f16 v50, v50, -2.0, v29
	v_fma_f16 v49, v49, 2.0, v48
	v_add_lshl_u32 v45, v22, v23, 2
	v_pack_b32_f16 v15, v15, v24
	v_pack_b32_f16 v16, v20, v16
	v_fma_f16 v28, v51, -2.0, v26
	v_fma_f16 v30, v56, 2.0, v17
	s_waitcnt lgkmcnt(0)
	; wave barrier
	v_pack_b32_f16 v18, v18, v21
	v_pack_b32_f16 v17, v26, v17
	ds_write2_b32 v45, v15, v16 offset0:28 offset1:35
	v_pack_b32_f16 v15, v50, v49
	v_pack_b32_f16 v16, v46, v47
	ds_write2_b32 v45, v18, v17 offset1:7
	v_pack_b32_f16 v17, v32, v25
	v_pack_b32_f16 v18, v29, v48
	ds_write2_b32 v45, v15, v16 offset0:42 offset1:49
	v_pack_b32_f16 v15, v28, v30
	v_lshlrev_b32_e32 v26, 3, v40
	ds_write2_b32 v45, v17, v18 offset0:14 offset1:21
	ds_write_b32 v45, v15 offset:224
	s_waitcnt lgkmcnt(0)
	; wave barrier
	s_waitcnt lgkmcnt(0)
	global_load_dwordx2 v[15:16], v26, s[2:3] offset:224
	v_add_co_u32_e32 v28, vcc, 0x7e, v40
	v_mov_b32_e32 v17, 5
	v_mul_lo_u16_sdwa v17, v28, v17 dst_sel:DWORD dst_unused:UNUSED_PAD src0_sel:BYTE_0 src1_sel:DWORD
	v_sub_u16_sdwa v18, v28, v17 dst_sel:DWORD dst_unused:UNUSED_PAD src0_sel:DWORD src1_sel:BYTE_1
	v_lshrrev_b16_e32 v18, 1, v18
	v_and_b32_e32 v18, 0x7f, v18
	v_add_u16_sdwa v17, v18, v17 dst_sel:DWORD dst_unused:UNUSED_PAD src0_sel:DWORD src1_sel:BYTE_1
	v_lshrrev_b16_e32 v17, 5, v17
	v_mul_lo_u16_e32 v17, 63, v17
	v_sub_u16_e32 v29, v28, v17
	v_mov_b32_e32 v17, 3
	v_lshlrev_b32_sdwa v17, v17, v29 dst_sel:DWORD dst_unused:UNUSED_PAD src0_sel:DWORD src1_sel:BYTE_0
	global_load_dwordx2 v[17:18], v17, s[2:3] offset:224
	ds_read2_b32 v[20:21], v33 offset1:63
	ds_read2_b32 v[22:23], v33 offset0:126 offset1:189
	ds_read2_b32 v[24:25], v31 offset0:122 offset1:185
	s_waitcnt lgkmcnt(2)
	v_lshrrev_b32_e32 v30, 16, v20
	s_waitcnt lgkmcnt(1)
	v_lshrrev_b32_e32 v32, 16, v23
	;; [unrolled: 2-line block ×3, first 2 shown]
	s_waitcnt vmcnt(1)
	v_mul_f16_sdwa v47, v32, v15 dst_sel:DWORD dst_unused:UNUSED_PAD src0_sel:DWORD src1_sel:WORD_1
	v_fma_f16 v47, v23, v15, -v47
	v_mul_f16_sdwa v23, v23, v15 dst_sel:DWORD dst_unused:UNUSED_PAD src0_sel:DWORD src1_sel:WORD_1
	v_fma_f16 v23, v32, v15, v23
	v_mul_f16_sdwa v32, v46, v16 dst_sel:DWORD dst_unused:UNUSED_PAD src0_sel:DWORD src1_sel:WORD_1
	v_fma_f16 v32, v24, v16, -v32
	v_mul_f16_sdwa v24, v24, v16 dst_sel:DWORD dst_unused:UNUSED_PAD src0_sel:DWORD src1_sel:WORD_1
	v_fma_f16 v24, v46, v16, v24
	v_sub_f16_e32 v46, v23, v24
	v_add_f16_e32 v48, v30, v23
	v_add_f16_e32 v23, v23, v24
	;; [unrolled: 1-line block ×4, first 2 shown]
	v_fma_f16 v30, v23, -0.5, v30
	v_add_f16_e32 v23, v47, v32
	v_add_f16_e32 v24, v24, v32
	v_fma_f16 v20, v23, -0.5, v20
	v_sub_f16_e32 v32, v47, v32
	v_fma_f16 v23, v46, s4, v20
	v_pack_b32_f16 v47, v24, v48
	v_fma_f16 v24, v32, s5, v30
	v_pack_b32_f16 v48, v23, v24
	ds_read_b32 v49, v33 offset:2016
	ds_read2_b32 v[23:24], v27 offset0:124 offset1:187
	s_waitcnt lgkmcnt(0)
	; wave barrier
	s_waitcnt lgkmcnt(0)
	ds_write2_b32 v33, v47, v48 offset1:63
	v_lshrrev_b32_e32 v47, 16, v25
	v_mul_f16_sdwa v48, v47, v16 dst_sel:DWORD dst_unused:UNUSED_PAD src0_sel:DWORD src1_sel:WORD_1
	v_fma_f16 v48, v25, v16, -v48
	v_mul_f16_sdwa v25, v25, v16 dst_sel:DWORD dst_unused:UNUSED_PAD src0_sel:DWORD src1_sel:WORD_1
	v_fma_f16 v25, v47, v16, v25
	v_lshrrev_b32_e32 v47, 16, v23
	v_mul_f16_sdwa v50, v23, v15 dst_sel:DWORD dst_unused:UNUSED_PAD src0_sel:DWORD src1_sel:WORD_1
	v_fma_f16 v50, v47, v15, v50
	v_mul_f16_sdwa v47, v47, v15 dst_sel:DWORD dst_unused:UNUSED_PAD src0_sel:DWORD src1_sel:WORD_1
	v_fma_f16 v23, v23, v15, -v47
	v_lshrrev_b32_e32 v47, 16, v24
	s_waitcnt vmcnt(0)
	v_mul_f16_sdwa v51, v47, v17 dst_sel:DWORD dst_unused:UNUSED_PAD src0_sel:DWORD src1_sel:WORD_1
	v_fma_f16 v51, v24, v17, -v51
	v_mul_f16_sdwa v24, v24, v17 dst_sel:DWORD dst_unused:UNUSED_PAD src0_sel:DWORD src1_sel:WORD_1
	v_fma_f16 v24, v47, v17, v24
	v_lshrrev_b32_e32 v47, 16, v49
	v_mul_f16_sdwa v52, v47, v18 dst_sel:DWORD dst_unused:UNUSED_PAD src0_sel:DWORD src1_sel:WORD_1
	v_fma_f16 v52, v49, v18, -v52
	v_mul_f16_sdwa v49, v49, v18 dst_sel:DWORD dst_unused:UNUSED_PAD src0_sel:DWORD src1_sel:WORD_1
	v_fma_f16 v30, v32, s4, v30
	v_add_f16_e32 v32, v23, v48
	v_fma_f16 v47, v47, v18, v49
	v_fma_f16 v20, v46, s5, v20
	v_fma_f16 v32, v32, -0.5, v21
	v_lshrrev_b32_e32 v46, 16, v21
	v_sub_f16_e32 v49, v50, v25
	v_fma_f16 v53, v49, s4, v32
	v_fma_f16 v32, v49, s5, v32
	v_add_f16_e32 v49, v46, v50
	v_add_f16_e32 v49, v49, v25
	;; [unrolled: 1-line block ×4, first 2 shown]
	v_fma_f16 v25, v25, -0.5, v46
	v_sub_f16_e32 v23, v23, v48
	v_add_f16_e32 v21, v21, v48
	v_fma_f16 v46, v23, s5, v25
	v_fma_f16 v23, v23, s4, v25
	v_add_f16_e32 v25, v51, v52
	v_fma_f16 v25, v25, -0.5, v22
	v_lshrrev_b32_e32 v48, 16, v22
	v_sub_f16_e32 v50, v24, v47
	v_pack_b32_f16 v20, v20, v30
	v_pack_b32_f16 v21, v21, v49
	v_fma_f16 v54, v50, s4, v25
	v_fma_f16 v25, v50, s5, v25
	v_add_f16_e32 v50, v48, v24
	v_add_f16_e32 v24, v24, v47
	ds_write2_b32 v33, v20, v21 offset0:126 offset1:189
	v_pack_b32_f16 v20, v53, v46
	v_pack_b32_f16 v21, v32, v23
	v_add_f16_e32 v22, v22, v51
	v_add_f16_e32 v50, v50, v47
	v_fma_f16 v24, v24, -0.5, v48
	v_sub_f16_e32 v47, v51, v52
	ds_write2_b32 v27, v20, v21 offset0:124 offset1:187
	v_mov_b32_e32 v20, 2
	v_add_f16_e32 v22, v22, v52
	v_fma_f16 v48, v47, s5, v24
	v_lshlrev_b32_sdwa v46, v20, v29 dst_sel:DWORD dst_unused:UNUSED_PAD src0_sel:DWORD src1_sel:BYTE_0
	v_fma_f16 v24, v47, s4, v24
	v_pack_b32_f16 v20, v22, v50
	v_pack_b32_f16 v21, v54, v48
	v_add_u32_e32 v22, 0x400, v46
	ds_write2_b32 v22, v20, v21 offset0:122 offset1:185
	v_pack_b32_f16 v20, v25, v24
	ds_write_b32 v46, v20 offset:2016
	s_waitcnt lgkmcnt(0)
	; wave barrier
	s_waitcnt lgkmcnt(0)
	global_load_dwordx2 v[19:20], v19, s[2:3] offset:728
	v_lshlrev_b32_e32 v25, 3, v28
	global_load_dwordx2 v[21:22], v25, s[2:3] offset:728
	global_load_dwordx2 v[23:24], v26, s[2:3] offset:728
	ds_read2_b32 v[25:26], v27 offset0:124 offset1:187
	ds_read2_b32 v[28:29], v33 offset0:126 offset1:189
	s_add_u32 s2, s14, 0x8dc
	s_addc_u32 s3, s15, 0
	s_waitcnt lgkmcnt(1)
	v_lshrrev_b32_e32 v30, 16, v25
	s_waitcnt vmcnt(2)
	v_mul_f16_sdwa v32, v30, v19 dst_sel:DWORD dst_unused:UNUSED_PAD src0_sel:DWORD src1_sel:WORD_1
	v_fma_f16 v32, v25, v19, -v32
	v_mul_f16_sdwa v49, v25, v19 dst_sel:DWORD dst_unused:UNUSED_PAD src0_sel:DWORD src1_sel:WORD_1
	ds_read_b32 v25, v33 offset:2016
	s_waitcnt vmcnt(1)
	v_pk_mul_f16 v47, v26, v21 op_sel:[0,1]
	v_pk_fma_f16 v48, v26, v21, v47 op_sel:[0,0,1] op_sel_hi:[1,1,0] neg_lo:[0,0,1] neg_hi:[0,0,1]
	v_pk_fma_f16 v26, v26, v21, v47 op_sel:[0,0,1] op_sel_hi:[1,0,0]
	v_bfi_b32 v50, s12, v48, v26
	s_waitcnt lgkmcnt(0)
	v_pk_mul_f16 v26, v25, v22 op_sel:[0,1]
	v_pk_fma_f16 v47, v25, v22, v26 op_sel:[0,0,1] op_sel_hi:[1,1,0] neg_lo:[0,0,1] neg_hi:[0,0,1]
	v_pk_fma_f16 v25, v25, v22, v26 op_sel:[0,0,1] op_sel_hi:[1,0,0]
	v_bfi_b32 v51, s12, v47, v25
	v_pk_add_f16 v25, v50, v51
	v_pk_add_f16 v26, v50, v51 neg_lo:[0,1] neg_hi:[0,1]
	v_pk_fma_f16 v25, v25, -0.5, v28 op_sel_hi:[1,0,1]
	v_pk_mul_f16 v26, v26, s4 op_sel_hi:[1,0]
	v_pk_add_f16 v47, v25, v26 op_sel:[0,1] op_sel_hi:[1,0]
	v_pk_add_f16 v26, v25, v26 op_sel:[0,1] op_sel_hi:[1,0] neg_lo:[0,1] neg_hi:[0,1]
	v_bfi_b32 v25, s12, v47, v26
	v_bfi_b32 v26, s12, v26, v47
	ds_read2_b32 v[47:48], v31 offset0:122 offset1:185
	v_fma_f16 v49, v30, v19, v49
	s_waitcnt vmcnt(0)
	v_mul_f16_sdwa v54, v29, v23 dst_sel:DWORD dst_unused:UNUSED_PAD src0_sel:DWORD src1_sel:WORD_1
	v_pk_add_f16 v28, v28, v50
	v_pk_add_f16 v28, v28, v51
	s_waitcnt lgkmcnt(0)
	v_lshrrev_b32_e32 v30, 16, v47
	v_mul_f16_sdwa v52, v47, v24 dst_sel:DWORD dst_unused:UNUSED_PAD src0_sel:DWORD src1_sel:WORD_1
	v_fma_f16 v52, v30, v24, v52
	v_mul_f16_sdwa v30, v30, v24 dst_sel:DWORD dst_unused:UNUSED_PAD src0_sel:DWORD src1_sel:WORD_1
	v_fma_f16 v47, v47, v24, -v30
	v_lshrrev_b32_e32 v30, 16, v48
	v_mul_f16_sdwa v53, v30, v20 dst_sel:DWORD dst_unused:UNUSED_PAD src0_sel:DWORD src1_sel:WORD_1
	v_fma_f16 v53, v48, v20, -v53
	v_mul_f16_sdwa v48, v48, v20 dst_sel:DWORD dst_unused:UNUSED_PAD src0_sel:DWORD src1_sel:WORD_1
	v_fma_f16 v48, v30, v20, v48
	v_lshrrev_b32_e32 v30, 16, v29
	v_fma_f16 v54, v30, v23, v54
	v_mul_f16_sdwa v30, v30, v23 dst_sel:DWORD dst_unused:UNUSED_PAD src0_sel:DWORD src1_sel:WORD_1
	v_fma_f16 v55, v29, v23, -v30
	ds_read2_b32 v[29:30], v33 offset1:63
	v_add_f16_e32 v56, v55, v47
	v_sub_f16_e32 v57, v54, v52
	s_waitcnt lgkmcnt(0)
	v_fma_f16 v56, v56, -0.5, v29
	v_fma_f16 v58, v57, s4, v56
	v_fma_f16 v56, v57, s5, v56
	v_lshrrev_b32_e32 v57, 16, v29
	v_add_f16_e32 v59, v57, v54
	v_add_f16_e32 v59, v59, v52
	;; [unrolled: 1-line block ×4, first 2 shown]
	v_fma_f16 v52, v52, -0.5, v57
	v_add_f16_e32 v29, v29, v47
	v_sub_f16_e32 v47, v55, v47
	v_fma_f16 v54, v47, s5, v52
	v_fma_f16 v47, v47, s4, v52
	v_add_f16_e32 v52, v32, v53
	v_lshrrev_b32_e32 v55, 16, v30
	v_pack_b32_f16 v47, v56, v47
	v_fma_f16 v52, v52, -0.5, v30
	v_add_f16_e32 v30, v30, v32
	ds_write_b32 v33, v47 offset:1512
	v_add_f16_e32 v47, v55, v49
	v_add_f16_e32 v30, v30, v53
	;; [unrolled: 1-line block ×3, first 2 shown]
	v_pack_b32_f16 v29, v29, v59
	v_pack_b32_f16 v54, v58, v54
	;; [unrolled: 1-line block ×3, first 2 shown]
	v_add_f16_e32 v47, v49, v48
	ds_write_b32 v33, v54 offset:756
	ds_write2_b32 v33, v29, v30 offset1:63
	v_sub_f16_e32 v29, v49, v48
	v_fma_f16 v47, v47, -0.5, v55
	v_sub_f16_e32 v32, v32, v53
	v_fma_f16 v30, v29, s4, v52
	v_fma_f16 v29, v29, s5, v52
	;; [unrolled: 1-line block ×4, first 2 shown]
	v_pack_b32_f16 v30, v30, v48
	v_pack_b32_f16 v29, v29, v32
	ds_write_b32 v33, v29 offset:1764
	ds_write_b32 v33, v28 offset:504
	ds_write2_b32 v27, v30, v25 offset0:124 offset1:187
	ds_write_b32 v33, v26 offset:2016
	s_waitcnt lgkmcnt(0)
	; wave barrier
	s_waitcnt lgkmcnt(0)
	global_load_dword v30, v[8:9], off offset:2268
	global_load_dword v32, v33, s[2:3] offset:324
	global_load_dword v47, v33, s[2:3] offset:648
	;; [unrolled: 1-line block ×3, first 2 shown]
	ds_read2_b32 v[28:29], v33 offset1:81
	s_waitcnt lgkmcnt(0)
	v_lshrrev_b32_e32 v49, 16, v28
	s_waitcnt vmcnt(3)
	v_mul_f16_sdwa v50, v28, v30 dst_sel:DWORD dst_unused:UNUSED_PAD src0_sel:DWORD src1_sel:WORD_1
	v_fma_f16 v50, v49, v30, v50
	v_mul_f16_sdwa v49, v49, v30 dst_sel:DWORD dst_unused:UNUSED_PAD src0_sel:DWORD src1_sel:WORD_1
	v_fma_f16 v28, v28, v30, -v49
	v_lshrrev_b32_e32 v30, 16, v29
	s_waitcnt vmcnt(2)
	v_mul_f16_sdwa v49, v30, v32 dst_sel:DWORD dst_unused:UNUSED_PAD src0_sel:DWORD src1_sel:WORD_1
	v_fma_f16 v49, v29, v32, -v49
	v_mul_f16_sdwa v29, v29, v32 dst_sel:DWORD dst_unused:UNUSED_PAD src0_sel:DWORD src1_sel:WORD_1
	v_fma_f16 v29, v30, v32, v29
	v_pack_b32_f16 v28, v28, v50
	v_pack_b32_f16 v29, v49, v29
	ds_write2_b32 v33, v28, v29 offset1:81
	ds_read2_b32 v[28:29], v33 offset0:162 offset1:243
	global_load_dword v30, v33, s[2:3] offset:1296
	global_load_dword v32, v33, s[2:3] offset:1620
	;; [unrolled: 1-line block ×3, first 2 shown]
	s_waitcnt lgkmcnt(0)
	v_lshrrev_b32_e32 v49, 16, v28
	s_waitcnt vmcnt(4)
	v_mul_f16_sdwa v50, v28, v47 dst_sel:DWORD dst_unused:UNUSED_PAD src0_sel:DWORD src1_sel:WORD_1
	v_fma_f16 v50, v49, v47, v50
	v_mul_f16_sdwa v49, v49, v47 dst_sel:DWORD dst_unused:UNUSED_PAD src0_sel:DWORD src1_sel:WORD_1
	v_fma_f16 v47, v28, v47, -v49
	v_lshrrev_b32_e32 v28, 16, v29
	s_waitcnt vmcnt(3)
	v_mul_f16_sdwa v49, v28, v48 dst_sel:DWORD dst_unused:UNUSED_PAD src0_sel:DWORD src1_sel:WORD_1
	v_fma_f16 v49, v29, v48, -v49
	v_mul_f16_sdwa v29, v29, v48 dst_sel:DWORD dst_unused:UNUSED_PAD src0_sel:DWORD src1_sel:WORD_1
	v_fma_f16 v48, v28, v48, v29
	ds_read2_b32 v[28:29], v31 offset0:68 offset1:149
	v_pack_b32_f16 v47, v47, v50
	ds_read_b32 v50, v33 offset:1944
	v_pack_b32_f16 v48, v49, v48
	ds_write2_b32 v33, v47, v48 offset0:162 offset1:243
	s_waitcnt lgkmcnt(2)
	v_lshrrev_b32_e32 v47, 16, v28
	s_waitcnt vmcnt(2)
	v_mul_f16_sdwa v48, v28, v30 dst_sel:DWORD dst_unused:UNUSED_PAD src0_sel:DWORD src1_sel:WORD_1
	v_fma_f16 v48, v47, v30, v48
	v_mul_f16_sdwa v47, v47, v30 dst_sel:DWORD dst_unused:UNUSED_PAD src0_sel:DWORD src1_sel:WORD_1
	v_fma_f16 v28, v28, v30, -v47
	v_lshrrev_b32_e32 v30, 16, v29
	s_waitcnt vmcnt(1)
	v_mul_f16_sdwa v47, v30, v32 dst_sel:DWORD dst_unused:UNUSED_PAD src0_sel:DWORD src1_sel:WORD_1
	v_fma_f16 v47, v29, v32, -v47
	v_mul_f16_sdwa v29, v29, v32 dst_sel:DWORD dst_unused:UNUSED_PAD src0_sel:DWORD src1_sel:WORD_1
	v_fma_f16 v29, v30, v32, v29
	v_pack_b32_f16 v28, v28, v48
	v_pack_b32_f16 v29, v47, v29
	ds_write2_b32 v31, v28, v29 offset0:68 offset1:149
	s_waitcnt lgkmcnt(2)
	v_lshrrev_b32_e32 v28, 16, v50
	s_waitcnt vmcnt(0)
	v_mul_f16_sdwa v29, v28, v51 dst_sel:DWORD dst_unused:UNUSED_PAD src0_sel:DWORD src1_sel:WORD_1
	v_mul_f16_sdwa v30, v50, v51 dst_sel:DWORD dst_unused:UNUSED_PAD src0_sel:DWORD src1_sel:WORD_1
	v_fma_f16 v29, v50, v51, -v29
	v_fma_f16 v28, v28, v51, v30
	v_pack_b32_f16 v28, v29, v28
	ds_write_b32 v33, v28 offset:1944
	s_and_saveexec_b64 s[4:5], s[0:1]
	s_cbranch_execz .LBB0_9
; %bb.8:
	v_add_co_u32_e32 v28, vcc, s2, v33
	v_mov_b32_e32 v29, s3
	v_addc_co_u32_e32 v29, vcc, 0, v29, vcc
	global_load_dword v32, v[28:29], off offset:252
	ds_read2_b32 v[47:48], v33 offset0:63 offset1:144
	s_waitcnt lgkmcnt(0)
	v_lshrrev_b32_e32 v30, 16, v47
	s_waitcnt vmcnt(0)
	v_mul_f16_sdwa v49, v30, v32 dst_sel:DWORD dst_unused:UNUSED_PAD src0_sel:DWORD src1_sel:WORD_1
	v_fma_f16 v49, v47, v32, -v49
	v_mul_f16_sdwa v47, v47, v32 dst_sel:DWORD dst_unused:UNUSED_PAD src0_sel:DWORD src1_sel:WORD_1
	v_fma_f16 v30, v30, v32, v47
	global_load_dword v47, v[28:29], off offset:576
	v_lshrrev_b32_e32 v32, 16, v48
	v_pack_b32_f16 v30, v49, v30
	s_waitcnt vmcnt(0)
	v_mul_f16_sdwa v49, v32, v47 dst_sel:DWORD dst_unused:UNUSED_PAD src0_sel:DWORD src1_sel:WORD_1
	v_fma_f16 v49, v48, v47, -v49
	v_mul_f16_sdwa v48, v48, v47 dst_sel:DWORD dst_unused:UNUSED_PAD src0_sel:DWORD src1_sel:WORD_1
	v_fma_f16 v32, v32, v47, v48
	v_pack_b32_f16 v32, v49, v32
	ds_write2_b32 v33, v30, v32 offset0:63 offset1:144
	global_load_dword v32, v[28:29], off offset:900
	ds_read2_b32 v[47:48], v27 offset0:97 offset1:178
	s_waitcnt lgkmcnt(0)
	v_lshrrev_b32_e32 v30, 16, v47
	s_waitcnt vmcnt(0)
	v_mul_f16_sdwa v49, v30, v32 dst_sel:DWORD dst_unused:UNUSED_PAD src0_sel:DWORD src1_sel:WORD_1
	v_fma_f16 v49, v47, v32, -v49
	v_mul_f16_sdwa v47, v47, v32 dst_sel:DWORD dst_unused:UNUSED_PAD src0_sel:DWORD src1_sel:WORD_1
	v_fma_f16 v30, v30, v32, v47
	global_load_dword v47, v[28:29], off offset:1224
	v_lshrrev_b32_e32 v32, 16, v48
	v_pack_b32_f16 v30, v49, v30
	s_waitcnt vmcnt(0)
	v_mul_f16_sdwa v49, v32, v47 dst_sel:DWORD dst_unused:UNUSED_PAD src0_sel:DWORD src1_sel:WORD_1
	v_fma_f16 v49, v48, v47, -v49
	v_mul_f16_sdwa v48, v48, v47 dst_sel:DWORD dst_unused:UNUSED_PAD src0_sel:DWORD src1_sel:WORD_1
	v_fma_f16 v32, v32, v47, v48
	v_pack_b32_f16 v32, v49, v32
	ds_write2_b32 v27, v30, v32 offset0:97 offset1:178
	global_load_dword v30, v[28:29], off offset:1548
	ds_read2_b32 v[47:48], v31 offset0:131 offset1:212
	s_waitcnt lgkmcnt(0)
	v_lshrrev_b32_e32 v27, 16, v47
	s_waitcnt vmcnt(0)
	v_mul_f16_sdwa v32, v27, v30 dst_sel:DWORD dst_unused:UNUSED_PAD src0_sel:DWORD src1_sel:WORD_1
	v_fma_f16 v32, v47, v30, -v32
	v_mul_f16_sdwa v47, v47, v30 dst_sel:DWORD dst_unused:UNUSED_PAD src0_sel:DWORD src1_sel:WORD_1
	v_fma_f16 v27, v27, v30, v47
	v_pack_b32_f16 v27, v32, v27
	global_load_dword v32, v[28:29], off offset:1872
	v_lshrrev_b32_e32 v30, 16, v48
	global_load_dword v28, v[28:29], off offset:2196
	s_waitcnt vmcnt(1)
	v_mul_f16_sdwa v47, v30, v32 dst_sel:DWORD dst_unused:UNUSED_PAD src0_sel:DWORD src1_sel:WORD_1
	v_fma_f16 v47, v48, v32, -v47
	v_mul_f16_sdwa v48, v48, v32 dst_sel:DWORD dst_unused:UNUSED_PAD src0_sel:DWORD src1_sel:WORD_1
	v_fma_f16 v30, v30, v32, v48
	v_pack_b32_f16 v30, v47, v30
	ds_write2_b32 v31, v27, v30 offset0:131 offset1:212
	ds_read_b32 v27, v33 offset:2196
	s_waitcnt lgkmcnt(0)
	v_lshrrev_b32_e32 v30, 16, v27
	s_waitcnt vmcnt(0)
	v_mul_f16_sdwa v29, v30, v28 dst_sel:DWORD dst_unused:UNUSED_PAD src0_sel:DWORD src1_sel:WORD_1
	v_fma_f16 v29, v27, v28, -v29
	v_mul_f16_sdwa v27, v27, v28 dst_sel:DWORD dst_unused:UNUSED_PAD src0_sel:DWORD src1_sel:WORD_1
	v_fma_f16 v27, v30, v28, v27
	v_pack_b32_f16 v27, v29, v27
	ds_write_b32 v33, v27 offset:2196
.LBB0_9:
	s_or_b64 exec, exec, s[4:5]
	s_waitcnt lgkmcnt(0)
	; wave barrier
	s_waitcnt lgkmcnt(0)
	ds_read2_b32 v[29:30], v33 offset1:81
	ds_read2_b32 v[27:28], v33 offset0:162 offset1:243
	ds_read2_b32 v[31:32], v31 offset0:68 offset1:149
	ds_read_b32 v47, v33 offset:1944
	s_and_saveexec_b64 s[2:3], s[0:1]
	s_cbranch_execz .LBB0_11
; %bb.10:
	v_add_u32_e32 v11, 0x200, v33
	v_add_u32_e32 v13, 0x400, v33
	ds_read2_b32 v[25:26], v33 offset0:63 offset1:144
	ds_read2_b32 v[11:12], v11 offset0:97 offset1:178
	ds_read2_b32 v[13:14], v13 offset0:131 offset1:212
	ds_read_b32 v42, v33 offset:2196
.LBB0_11:
	s_or_b64 exec, exec, s[2:3]
	s_waitcnt lgkmcnt(0)
	v_pk_add_f16 v48, v30, v47
	v_pk_add_f16 v49, v27, v32
	;; [unrolled: 1-line block ×3, first 2 shown]
	v_pk_add_f16 v30, v30, v47 neg_lo:[0,1] neg_hi:[0,1]
	v_pk_add_f16 v27, v27, v32 neg_lo:[0,1] neg_hi:[0,1]
	v_pk_add_f16 v51, v49, v48
	v_pk_add_f16 v28, v31, v28 neg_lo:[0,1] neg_hi:[0,1]
	v_pk_add_f16 v32, v48, v50 neg_lo:[0,1] neg_hi:[0,1]
	;; [unrolled: 1-line block ×3, first 2 shown]
	s_movk_i32 s2, 0x3a52
	s_mov_b32 s5, 0xbb00
	v_pk_add_f16 v51, v50, v51
	v_pk_add_f16 v31, v49, v48 neg_lo:[0,1] neg_hi:[0,1]
	v_pk_add_f16 v47, v28, v27
	v_pk_add_f16 v48, v30, v28 neg_lo:[0,1] neg_hi:[0,1]
	v_pk_mul_f16 v32, v32, s2 op_sel_hi:[1,0]
	s_movk_i32 s4, 0x39e0
	s_mov_b32 s2, 0xb574
	v_pk_mul_f16 v52, v52, s5 op_sel_hi:[1,0]
	v_pk_add_f16 v29, v29, v51
	v_pk_add_f16 v30, v47, v30
	v_pk_mul_f16 v31, v31, s4 op_sel_hi:[1,0]
	v_pk_mul_f16 v47, v48, s2 op_sel_hi:[1,0]
	v_pk_fma_f16 v48, v48, s2, v52 op_sel_hi:[1,0,1] neg_lo:[1,0,1] neg_hi:[1,0,1]
	s_mov_b32 s14, 0xbcab
	v_pk_add_f16 v49, v50, v49 neg_lo:[0,1] neg_hi:[0,1]
	v_pk_add_f16 v27, v28, v27 neg_lo:[0,1] neg_hi:[0,1]
	s_movk_i32 s2, 0x2b26
	s_movk_i32 s3, 0x3846
	v_pk_add_f16 v53, v32, v31 op_sel:[1,1] op_sel_hi:[0,0] neg_lo:[1,1] neg_hi:[1,1]
	s_mov_b32 s12, 0xb70e
	v_pk_fma_f16 v51, v51, s14, v29 op_sel_hi:[1,0,1]
	v_pk_fma_f16 v28, v49, s2, v31 op_sel_hi:[1,0,1] neg_lo:[1,0,0] neg_hi:[1,0,0]
	v_pk_fma_f16 v31, v27, s3, v52 op_sel_hi:[1,0,1] neg_lo:[1,0,0] neg_hi:[1,0,0]
	v_pk_fma_f16 v48, v30, s12, v48 op_sel_hi:[1,0,1]
	v_pk_add_f16 v53, v53, v51 op_sel:[0,1] op_sel_hi:[1,0]
	v_pk_fma_f16 v31, v30, s12, v31 op_sel_hi:[1,0,1]
	v_pk_add_f16 v28, v28, v51
	v_pk_add_f16 v54, v53, v48
	v_pk_add_f16 v48, v53, v48 neg_lo:[0,1] neg_hi:[0,1]
	v_pk_add_f16 v50, v28, v31 op_sel:[0,1] op_sel_hi:[1,0] neg_lo:[0,1] neg_hi:[0,1]
	v_pk_add_f16 v28, v28, v31 op_sel:[0,1] op_sel_hi:[1,0]
	s_mov_b32 s13, 0xffff
	v_alignbit_b32 v53, v48, v54, 16
	v_bfi_b32 v31, s13, v50, v28
	s_waitcnt lgkmcnt(0)
	; wave barrier
	ds_write2_b32 v43, v53, v31 offset0:2 offset1:3
	v_bfi_b32 v28, s13, v28, v50
	v_alignbit_b32 v31, v54, v48, 16
	ds_write2_b32 v43, v28, v31 offset0:4 offset1:5
	v_pk_fma_f16 v28, v49, s2, v32 op_sel_hi:[1,0,1]
	v_pk_fma_f16 v27, v27, s3, v47 op_sel_hi:[1,0,1]
	;; [unrolled: 1-line block ×3, first 2 shown]
	v_pk_add_f16 v28, v28, v51
	v_pk_add_f16 v30, v28, v27 op_sel:[0,1] op_sel_hi:[1,0]
	v_pk_add_f16 v27, v28, v27 op_sel:[0,1] op_sel_hi:[1,0] neg_lo:[0,1] neg_hi:[0,1]
	v_bfi_b32 v28, s13, v27, v30
	v_bfi_b32 v27, s13, v30, v27
	ds_write2_b32 v43, v29, v27 offset1:1
	ds_write_b32 v43, v28 offset:24
	s_and_saveexec_b64 s[2:3], s[0:1]
	s_cbranch_execz .LBB0_13
; %bb.12:
	v_pk_add_f16 v27, v42, v26
	v_pk_add_f16 v29, v14, v11
	;; [unrolled: 1-line block ×4, first 2 shown]
	v_lshlrev_b32_e32 v30, 2, v44
	v_pk_add_f16 v31, v28, v31
	v_bfi_b32 v32, s13, v27, v28
	v_bfi_b32 v43, s13, v28, v29
	;; [unrolled: 1-line block ×4, first 2 shown]
	v_pk_add_f16 v26, v26, v42 neg_lo:[0,1] neg_hi:[0,1]
	v_pk_add_f16 v12, v13, v12 neg_lo:[0,1] neg_hi:[0,1]
	;; [unrolled: 1-line block ×4, first 2 shown]
	s_mov_b32 s16, 0x3a522b26
	v_alignbit_b32 v42, v26, v12, 16
	v_alignbit_b32 v44, v12, v11, 16
	v_pk_add_f16 v32, v32, v43 neg_lo:[0,1] neg_hi:[0,1]
	s_mov_b32 s15, 0x2b263a52
	v_pk_mul_f16 v28, v28, s16
	v_alignbit_b32 v13, v12, v26, 16
	v_alignbit_b32 v14, v11, v12, 16
	v_pk_add_f16 v42, v42, v44 neg_lo:[0,1] neg_hi:[0,1]
	s_mov_b32 s16, 0xb5743846
	v_pk_add_f16 v12, v12, v11
	v_pk_add_f16 v25, v25, v31
	v_pk_mul_f16 v43, v32, s15
	v_pk_fma_f16 v32, v32, s15, v28
	v_pk_add_f16 v13, v13, v14 neg_lo:[0,1] neg_hi:[0,1]
	s_mov_b32 s15, 0x3846b574
	v_pk_mul_f16 v42, v42, s16
	v_pk_add_f16 v12, v12, v26
	v_pk_mul_f16 v14, v13, s15
	v_pk_fma_f16 v13, v13, s15, v42
	v_pk_mul_f16 v44, v12, s12 op_sel_hi:[1,0]
	v_pk_fma_f16 v31, v31, s14, v25 op_sel_hi:[1,0,1]
	v_pk_add_f16 v13, v44, v13 op_sel:[1,0] op_sel_hi:[0,1]
	v_pk_add_f16 v32, v32, v31
	v_pk_add_f16 v44, v32, v13
	v_pk_add_f16 v13, v32, v13 neg_lo:[0,1] neg_hi:[0,1]
	v_pk_add_f16 v11, v11, v26 neg_lo:[0,1] neg_hi:[0,1]
	v_alignbit_b32 v26, v14, v42, 16
	v_alignbit_b32 v14, v42, v14, 16
	v_bfi_b32 v32, s13, v44, v13
	v_pk_fma_f16 v26, v11, s5, v26 op_sel_hi:[1,0,1] neg_lo:[1,0,1] neg_hi:[1,0,1]
	v_pk_fma_f16 v11, v11, s5, v14 op_sel_hi:[1,0,1] neg_lo:[0,0,1] neg_hi:[0,0,1]
	ds_write2_b32 v30, v25, v32 offset1:1
	v_pk_add_f16 v25, v29, v27 neg_lo:[0,1] neg_hi:[0,1]
	v_bfi_b32 v27, s13, v43, v28
	v_pk_fma_f16 v26, v12, s12, v26 op_sel_hi:[1,0,1]
	v_pk_fma_f16 v11, v12, s12, v11 op_sel_hi:[1,0,1]
	v_bfi_b32 v12, s13, v28, v43
	v_pk_fma_f16 v27, v25, s4, v27 op_sel_hi:[1,0,1] neg_lo:[1,0,1] neg_hi:[1,0,1]
	v_pk_fma_f16 v12, v25, s4, v12 op_sel_hi:[1,0,1] neg_lo:[0,0,1] neg_hi:[0,0,1]
	v_pk_add_f16 v27, v27, v31
	v_pk_add_f16 v12, v12, v31
	v_pk_add_f16 v29, v27, v26 op_sel:[0,1] op_sel_hi:[1,0]
	v_pk_add_f16 v26, v27, v26 op_sel:[0,1] op_sel_hi:[1,0] neg_lo:[0,1] neg_hi:[0,1]
	v_pk_add_f16 v14, v12, v11 op_sel:[0,1] op_sel_hi:[1,0] neg_lo:[0,1] neg_hi:[0,1]
	v_pk_add_f16 v11, v12, v11 op_sel:[0,1] op_sel_hi:[1,0]
	v_bfi_b32 v27, s13, v29, v26
	v_bfi_b32 v12, s13, v14, v11
	ds_write2_b32 v30, v27, v12 offset0:2 offset1:3
	v_bfi_b32 v11, s13, v11, v14
	v_bfi_b32 v12, s13, v26, v29
	ds_write2_b32 v30, v11, v12 offset0:4 offset1:5
	v_bfi_b32 v11, s13, v13, v44
	ds_write_b32 v30, v11 offset:24
.LBB0_13:
	s_or_b64 exec, exec, s[2:3]
	s_waitcnt lgkmcnt(0)
	; wave barrier
	s_waitcnt lgkmcnt(0)
	ds_read2_b32 v[13:14], v33 offset1:63
	ds_read2_b32 v[25:26], v33 offset0:126 offset1:189
	v_add_u32_e32 v12, 0x200, v33
	ds_read2_b32 v[27:28], v12 offset0:124 offset1:187
	v_add_u32_e32 v11, 0x400, v33
	s_waitcnt lgkmcnt(2)
	v_lshrrev_b32_e32 v32, 16, v14
	v_mul_f16_sdwa v52, v0, v32 dst_sel:DWORD dst_unused:UNUSED_PAD src0_sel:WORD_1 src1_sel:DWORD
	s_waitcnt lgkmcnt(1)
	v_lshrrev_b32_e32 v42, 16, v25
	v_fma_f16 v52, v0, v14, v52
	v_mul_f16_sdwa v14, v0, v14 dst_sel:DWORD dst_unused:UNUSED_PAD src0_sel:WORD_1 src1_sel:DWORD
	v_fma_f16 v0, v0, v32, -v14
	v_mul_f16_sdwa v14, v1, v42 dst_sel:DWORD dst_unused:UNUSED_PAD src0_sel:WORD_1 src1_sel:DWORD
	v_lshrrev_b32_e32 v43, 16, v26
	v_fma_f16 v14, v1, v25, v14
	v_mul_f16_sdwa v25, v1, v25 dst_sel:DWORD dst_unused:UNUSED_PAD src0_sel:WORD_1 src1_sel:DWORD
	ds_read2_b32 v[29:30], v11 offset0:122 offset1:185
	v_fma_f16 v1, v1, v42, -v25
	v_mul_f16_sdwa v25, v2, v43 dst_sel:DWORD dst_unused:UNUSED_PAD src0_sel:WORD_1 src1_sel:DWORD
	s_waitcnt lgkmcnt(1)
	v_lshrrev_b32_e32 v47, 16, v27
	v_fma_f16 v25, v2, v26, v25
	v_mul_f16_sdwa v26, v2, v26 dst_sel:DWORD dst_unused:UNUSED_PAD src0_sel:WORD_1 src1_sel:DWORD
	v_fma_f16 v2, v2, v43, -v26
	v_mul_f16_sdwa v26, v3, v47 dst_sel:DWORD dst_unused:UNUSED_PAD src0_sel:WORD_1 src1_sel:DWORD
	v_lshrrev_b32_e32 v48, 16, v28
	v_fma_f16 v26, v3, v27, v26
	v_mul_f16_sdwa v27, v3, v27 dst_sel:DWORD dst_unused:UNUSED_PAD src0_sel:WORD_1 src1_sel:DWORD
	ds_read_b32 v44, v33 offset:2016
	v_fma_f16 v3, v3, v47, -v27
	v_mul_f16_sdwa v27, v4, v48 dst_sel:DWORD dst_unused:UNUSED_PAD src0_sel:WORD_1 src1_sel:DWORD
	s_waitcnt lgkmcnt(1)
	v_lshrrev_b32_e32 v49, 16, v29
	v_fma_f16 v27, v4, v28, v27
	v_mul_f16_sdwa v28, v4, v28 dst_sel:DWORD dst_unused:UNUSED_PAD src0_sel:WORD_1 src1_sel:DWORD
	v_fma_f16 v4, v4, v48, -v28
	v_mul_f16_sdwa v28, v5, v49 dst_sel:DWORD dst_unused:UNUSED_PAD src0_sel:WORD_1 src1_sel:DWORD
	v_lshrrev_b32_e32 v50, 16, v30
	v_fma_f16 v28, v5, v29, v28
	v_mul_f16_sdwa v29, v5, v29 dst_sel:DWORD dst_unused:UNUSED_PAD src0_sel:WORD_1 src1_sel:DWORD
	v_fma_f16 v5, v5, v49, -v29
	v_mul_f16_sdwa v29, v6, v50 dst_sel:DWORD dst_unused:UNUSED_PAD src0_sel:WORD_1 src1_sel:DWORD
	s_waitcnt lgkmcnt(0)
	v_lshrrev_b32_e32 v51, 16, v44
	v_fma_f16 v29, v6, v30, v29
	v_mul_f16_sdwa v30, v6, v30 dst_sel:DWORD dst_unused:UNUSED_PAD src0_sel:WORD_1 src1_sel:DWORD
	v_fma_f16 v6, v6, v50, -v30
	v_mul_f16_sdwa v30, v7, v51 dst_sel:DWORD dst_unused:UNUSED_PAD src0_sel:WORD_1 src1_sel:DWORD
	v_fma_f16 v30, v7, v44, v30
	v_mul_f16_sdwa v32, v7, v44 dst_sel:DWORD dst_unused:UNUSED_PAD src0_sel:WORD_1 src1_sel:DWORD
	v_fma_f16 v7, v7, v51, -v32
	v_add_f16_e32 v32, v52, v30
	v_add_f16_e32 v43, v14, v29
	v_sub_f16_e32 v30, v52, v30
	v_add_f16_e32 v42, v0, v7
	v_add_f16_e32 v44, v1, v6
	;; [unrolled: 1-line block ×4, first 2 shown]
	v_sub_f16_e32 v0, v0, v7
	v_sub_f16_e32 v7, v14, v29
	;; [unrolled: 1-line block ×5, first 2 shown]
	v_mul_f16_e32 v5, 0x3924, v30
	s_movk_i32 s3, 0x3be1
	v_sub_f16_e32 v25, v26, v27
	v_sub_f16_e32 v28, v3, v4
	v_add_f16_e32 v50, v26, v27
	v_add_f16_e32 v57, v43, v32
	v_lshrrev_b32_e32 v31, 16, v13
	v_mul_f16_e32 v14, 0x3924, v0
	v_fma_f16 v5, v7, s3, v5
	s_movk_i32 s2, 0x3aee
	v_add_f16_e32 v51, v3, v4
	v_mul_f16_e32 v52, 0xb924, v25
	v_mul_f16_e32 v53, 0xb924, v28
	v_add_f16_e32 v55, v47, v13
	v_add_f16_e32 v58, v44, v42
	;; [unrolled: 1-line block ×3, first 2 shown]
	v_fma_f16 v14, v1, s3, v14
	v_fma_f16 v5, v6, s2, v5
	s_movk_i32 s4, 0x3579
	v_fma_f16 v52, v30, s3, v52
	v_fma_f16 v53, v0, s3, v53
	s_mov_b32 s3, 0xbaee
	v_add_f16_e32 v56, v48, v31
	v_fma_f16 v55, v59, -0.5, v55
	v_add_f16_e32 v59, v51, v58
	v_fma_f16 v14, v2, s2, v14
	v_fma_f16 v5, v25, s4, v5
	s_mov_b32 s14, 0xb924
	v_fma_f16 v52, v6, s3, v52
	v_fma_f16 v56, v59, -0.5, v56
	v_add_f16_e32 v59, v25, v30
	v_mul_f16_e32 v25, 0x3be1, v25
	v_fma_f16 v14, v28, s4, v14
	v_fma_f16 v53, v2, s3, v53
	;; [unrolled: 1-line block ×3, first 2 shown]
	v_sub_f16_e32 v59, v59, v7
	v_fma_f16 v7, v7, s14, -v25
	v_add_f16_e32 v25, v28, v0
	v_mul_f16_e32 v28, 0x3be1, v28
	v_fma_f16 v53, v1, s4, v53
	v_sub_f16_e32 v25, v25, v1
	v_fma_f16 v1, v1, s14, -v28
	v_fma_f16 v6, v6, s2, v7
	s_movk_i32 s5, 0x3a21
	v_fma_f16 v1, v2, s2, v1
	v_fma_f16 v2, v30, s4, v6
	v_add_f16_e32 v6, v48, v58
	v_fma_f16 v29, v32, s5, v13
	v_fma_f16 v49, v42, s5, v31
	s_movk_i32 s12, 0x318f
	v_add_f16_e32 v3, v3, v6
	v_fma_f16 v29, v43, s12, v29
	v_fma_f16 v49, v44, s12, v49
	;; [unrolled: 1-line block ×5, first 2 shown]
	v_add_f16_e32 v1, v47, v57
	v_add_f16_e32 v3, v4, v3
	v_fma_f16 v4, v43, s5, v13
	v_fma_f16 v6, v44, s5, v31
	v_fma_f16 v29, v47, -0.5, v29
	v_fma_f16 v49, v48, -0.5, v49
	s_mov_b32 s13, 0xbb84
	v_fma_f16 v54, v32, s12, v54
	v_fma_f16 v28, v42, s12, v28
	v_add_f16_e32 v1, v26, v1
	v_fma_f16 v4, v50, s12, v4
	v_fma_f16 v6, v51, s12, v6
	;; [unrolled: 1-line block ×4, first 2 shown]
	v_fma_f16 v54, v47, -0.5, v54
	v_fma_f16 v28, v48, -0.5, v28
	v_add_f16_e32 v1, v27, v1
	v_fma_f16 v4, v47, -0.5, v4
	v_fma_f16 v6, v48, -0.5, v6
	v_sub_f16_e32 v29, v29, v14
	v_add_f16_e32 v49, v5, v49
	v_fma_f16 v54, v43, s13, v54
	v_fma_f16 v28, v44, s13, v28
	v_add_f16_e32 v1, v1, v13
	v_add_f16_e32 v3, v3, v31
	v_fma_f16 v4, v32, s13, v4
	v_fma_f16 v6, v42, s13, v6
	v_sub_f16_e32 v54, v54, v53
	v_add_f16_e32 v28, v52, v28
	v_fma_f16 v56, v59, s2, v56
	v_fma_f16 v55, v25, s3, v55
	v_sub_f16_e32 v4, v4, v0
	v_add_f16_e32 v6, v2, v6
	v_pack_b32_f16 v1, v1, v3
	v_pack_b32_f16 v3, v29, v49
	v_mul_f16_e32 v59, 0x3aee, v59
	v_mul_f16_e32 v25, 0x3aee, v25
	v_fma_f16 v0, v0, 2.0, v4
	v_fma_f16 v2, v2, -2.0, v6
	s_waitcnt lgkmcnt(0)
	; wave barrier
	ds_write2_b32 v45, v1, v3 offset1:7
	v_pack_b32_f16 v1, v54, v28
	v_pack_b32_f16 v3, v55, v56
	v_fma_f16 v53, v53, 2.0, v54
	v_fma_f16 v52, v52, -2.0, v28
	v_fma_f16 v25, v25, 2.0, v55
	v_fma_f16 v59, v59, -2.0, v56
	ds_write2_b32 v45, v1, v3 offset0:14 offset1:21
	v_pack_b32_f16 v1, v4, v6
	v_pack_b32_f16 v0, v0, v2
	v_fma_f16 v14, v14, 2.0, v29
	v_fma_f16 v5, v5, -2.0, v49
	ds_write2_b32 v45, v1, v0 offset0:28 offset1:35
	v_pack_b32_f16 v0, v25, v59
	v_pack_b32_f16 v1, v53, v52
	ds_write2_b32 v45, v0, v1 offset0:42 offset1:49
	v_pack_b32_f16 v0, v14, v5
	ds_write_b32 v45, v0 offset:224
	s_waitcnt lgkmcnt(0)
	; wave barrier
	s_waitcnt lgkmcnt(0)
	ds_read2_b32 v[0:1], v33 offset1:63
	ds_read2_b32 v[2:3], v33 offset0:126 offset1:189
	ds_read2_b32 v[4:5], v11 offset0:122 offset1:185
	;; [unrolled: 1-line block ×3, first 2 shown]
	ds_read_b32 v27, v33 offset:2016
	s_waitcnt lgkmcnt(4)
	v_lshrrev_b32_e32 v13, 16, v0
	s_waitcnt lgkmcnt(3)
	v_lshrrev_b32_e32 v14, 16, v3
	v_mul_f16_sdwa v42, v15, v14 dst_sel:DWORD dst_unused:UNUSED_PAD src0_sel:WORD_1 src1_sel:DWORD
	s_waitcnt lgkmcnt(2)
	v_lshrrev_b32_e32 v25, 16, v4
	v_fma_f16 v42, v15, v3, v42
	v_mul_f16_sdwa v3, v15, v3 dst_sel:DWORD dst_unused:UNUSED_PAD src0_sel:WORD_1 src1_sel:DWORD
	v_fma_f16 v3, v15, v14, -v3
	v_mul_f16_sdwa v14, v16, v25 dst_sel:DWORD dst_unused:UNUSED_PAD src0_sel:WORD_1 src1_sel:DWORD
	s_waitcnt lgkmcnt(1)
	v_lshrrev_b32_e32 v28, 16, v6
	v_fma_f16 v14, v16, v4, v14
	v_mul_f16_sdwa v4, v16, v4 dst_sel:DWORD dst_unused:UNUSED_PAD src0_sel:WORD_1 src1_sel:DWORD
	v_fma_f16 v4, v16, v25, -v4
	v_mul_f16_sdwa v25, v15, v28 dst_sel:DWORD dst_unused:UNUSED_PAD src0_sel:WORD_1 src1_sel:DWORD
	v_lshrrev_b32_e32 v29, 16, v5
	v_fma_f16 v25, v15, v6, v25
	v_mul_f16_sdwa v6, v15, v6 dst_sel:DWORD dst_unused:UNUSED_PAD src0_sel:WORD_1 src1_sel:DWORD
	v_fma_f16 v6, v15, v28, -v6
	v_mul_f16_sdwa v15, v16, v29 dst_sel:DWORD dst_unused:UNUSED_PAD src0_sel:WORD_1 src1_sel:DWORD
	;; [unrolled: 5-line block ×3, first 2 shown]
	s_waitcnt lgkmcnt(0)
	v_lshrrev_b32_e32 v32, 16, v27
	v_fma_f16 v16, v17, v7, v16
	v_mul_f16_sdwa v7, v17, v7 dst_sel:DWORD dst_unused:UNUSED_PAD src0_sel:WORD_1 src1_sel:DWORD
	v_fma_f16 v7, v17, v31, -v7
	v_mul_f16_sdwa v17, v18, v32 dst_sel:DWORD dst_unused:UNUSED_PAD src0_sel:WORD_1 src1_sel:DWORD
	v_fma_f16 v17, v18, v27, v17
	v_mul_f16_sdwa v27, v18, v27 dst_sel:DWORD dst_unused:UNUSED_PAD src0_sel:WORD_1 src1_sel:DWORD
	v_add_f16_e32 v28, v42, v14
	v_fma_f16 v18, v18, v32, -v27
	v_add_f16_e32 v27, v0, v42
	v_fma_f16 v0, v28, -0.5, v0
	v_sub_f16_e32 v28, v3, v4
	v_fma_f16 v29, v28, s3, v0
	v_fma_f16 v0, v28, s2, v0
	v_add_f16_e32 v28, v13, v3
	v_add_f16_e32 v3, v3, v4
	;; [unrolled: 1-line block ×4, first 2 shown]
	v_fma_f16 v3, v3, -0.5, v13
	v_sub_f16_e32 v4, v42, v14
	v_add_f16_e32 v14, v25, v15
	v_lshrrev_b32_e32 v26, 16, v1
	v_fma_f16 v13, v4, s2, v3
	v_fma_f16 v3, v4, s3, v3
	v_add_f16_e32 v4, v1, v25
	v_fma_f16 v1, v14, -0.5, v1
	v_sub_f16_e32 v14, v6, v5
	v_fma_f16 v31, v14, s3, v1
	v_fma_f16 v1, v14, s2, v1
	v_add_f16_e32 v14, v26, v6
	v_add_f16_e32 v14, v14, v5
	;; [unrolled: 1-line block ×3, first 2 shown]
	v_fma_f16 v5, v5, -0.5, v26
	v_sub_f16_e32 v6, v25, v15
	v_add_f16_e32 v25, v16, v17
	v_lshrrev_b32_e32 v30, 16, v2
	v_add_f16_e32 v4, v4, v15
	v_fma_f16 v15, v6, s2, v5
	v_fma_f16 v5, v6, s3, v5
	v_add_f16_e32 v6, v2, v16
	v_fma_f16 v2, v25, -0.5, v2
	v_sub_f16_e32 v25, v7, v18
	v_fma_f16 v26, v25, s3, v2
	v_fma_f16 v2, v25, s2, v2
	v_add_f16_e32 v25, v30, v7
	v_add_f16_e32 v7, v7, v18
	v_fma_f16 v7, v7, -0.5, v30
	v_sub_f16_e32 v16, v16, v17
	v_add_f16_e32 v6, v6, v17
	v_fma_f16 v17, v16, s2, v7
	v_fma_f16 v7, v16, s3, v7
	v_pack_b32_f16 v16, v27, v28
	v_pack_b32_f16 v13, v29, v13
	;; [unrolled: 1-line block ×4, first 2 shown]
	v_add_f16_e32 v25, v25, v18
	s_waitcnt lgkmcnt(0)
	; wave barrier
	ds_write2_b32 v33, v16, v13 offset1:63
	ds_write2_b32 v33, v0, v3 offset0:126 offset1:189
	v_pack_b32_f16 v0, v31, v15
	v_pack_b32_f16 v1, v1, v5
	ds_write2_b32 v12, v0, v1 offset0:124 offset1:187
	v_pack_b32_f16 v0, v6, v25
	v_pack_b32_f16 v1, v26, v17
	v_add_u32_e32 v3, 0x400, v46
	ds_write2_b32 v3, v0, v1 offset0:122 offset1:185
	v_pack_b32_f16 v0, v2, v7
	ds_write_b32 v46, v0 offset:2016
	s_waitcnt lgkmcnt(0)
	; wave barrier
	s_waitcnt lgkmcnt(0)
	ds_read2_b32 v[0:1], v33 offset1:63
	ds_read2_b32 v[2:3], v33 offset0:126 offset1:189
	ds_read2_b32 v[4:5], v11 offset0:122 offset1:185
	ds_read2_b32 v[6:7], v12 offset0:124 offset1:187
	ds_read_b32 v17, v33 offset:2016
	s_waitcnt lgkmcnt(4)
	v_lshrrev_b32_e32 v13, 16, v0
	s_waitcnt lgkmcnt(3)
	v_lshrrev_b32_e32 v14, 16, v3
	v_mul_f16_sdwa v29, v23, v14 dst_sel:DWORD dst_unused:UNUSED_PAD src0_sel:WORD_1 src1_sel:DWORD
	s_waitcnt lgkmcnt(2)
	v_lshrrev_b32_e32 v15, 16, v4
	v_fma_f16 v29, v23, v3, v29
	v_mul_f16_sdwa v3, v23, v3 dst_sel:DWORD dst_unused:UNUSED_PAD src0_sel:WORD_1 src1_sel:DWORD
	v_fma_f16 v3, v23, v14, -v3
	v_mul_f16_sdwa v14, v24, v15 dst_sel:DWORD dst_unused:UNUSED_PAD src0_sel:WORD_1 src1_sel:DWORD
	s_waitcnt lgkmcnt(1)
	v_lshrrev_b32_e32 v18, 16, v6
	v_fma_f16 v14, v24, v4, v14
	v_mul_f16_sdwa v4, v24, v4 dst_sel:DWORD dst_unused:UNUSED_PAD src0_sel:WORD_1 src1_sel:DWORD
	v_fma_f16 v4, v24, v15, -v4
	v_mul_f16_sdwa v15, v19, v18 dst_sel:DWORD dst_unused:UNUSED_PAD src0_sel:WORD_1 src1_sel:DWORD
	v_lshrrev_b32_e32 v25, 16, v5
	v_fma_f16 v15, v19, v6, v15
	v_mul_f16_sdwa v6, v19, v6 dst_sel:DWORD dst_unused:UNUSED_PAD src0_sel:WORD_1 src1_sel:DWORD
	v_fma_f16 v6, v19, v18, -v6
	v_mul_f16_sdwa v18, v20, v25 dst_sel:DWORD dst_unused:UNUSED_PAD src0_sel:WORD_1 src1_sel:DWORD
	s_waitcnt lgkmcnt(0)
	v_lshrrev_b32_e32 v28, 16, v17
	v_fma_f16 v18, v20, v5, v18
	v_mul_f16_sdwa v5, v20, v5 dst_sel:DWORD dst_unused:UNUSED_PAD src0_sel:WORD_1 src1_sel:DWORD
	v_lshrrev_b32_e32 v27, 16, v7
	v_fma_f16 v5, v20, v25, -v5
	v_mul_f16_sdwa v20, v22, v28 dst_sel:DWORD dst_unused:UNUSED_PAD src0_sel:WORD_1 src1_sel:DWORD
	v_mul_f16_sdwa v19, v21, v27 dst_sel:DWORD dst_unused:UNUSED_PAD src0_sel:WORD_1 src1_sel:DWORD
	v_fma_f16 v20, v22, v17, v20
	v_mul_f16_sdwa v17, v22, v17 dst_sel:DWORD dst_unused:UNUSED_PAD src0_sel:WORD_1 src1_sel:DWORD
	v_fma_f16 v19, v21, v7, v19
	v_mul_f16_sdwa v7, v21, v7 dst_sel:DWORD dst_unused:UNUSED_PAD src0_sel:WORD_1 src1_sel:DWORD
	v_fma_f16 v17, v22, v28, -v17
	v_add_f16_e32 v22, v29, v14
	v_fma_f16 v7, v21, v27, -v7
	v_add_f16_e32 v21, v0, v29
	v_fma_f16 v0, v22, -0.5, v0
	v_sub_f16_e32 v22, v3, v4
	v_fma_f16 v23, v22, s3, v0
	v_fma_f16 v0, v22, s2, v0
	v_add_f16_e32 v22, v13, v3
	v_add_f16_e32 v3, v3, v4
	;; [unrolled: 1-line block ×4, first 2 shown]
	v_fma_f16 v3, v3, -0.5, v13
	v_sub_f16_e32 v4, v29, v14
	v_add_f16_e32 v14, v15, v18
	v_lshrrev_b32_e32 v16, 16, v1
	v_fma_f16 v13, v4, s2, v3
	v_fma_f16 v3, v4, s3, v3
	v_add_f16_e32 v4, v1, v15
	v_fma_f16 v1, v14, -0.5, v1
	v_sub_f16_e32 v14, v6, v5
	v_fma_f16 v24, v14, s3, v1
	v_fma_f16 v1, v14, s2, v1
	v_add_f16_e32 v14, v16, v6
	v_add_f16_e32 v14, v14, v5
	;; [unrolled: 1-line block ×3, first 2 shown]
	v_fma_f16 v5, v5, -0.5, v16
	v_sub_f16_e32 v6, v15, v18
	v_add_f16_e32 v16, v19, v20
	v_lshrrev_b32_e32 v26, 16, v2
	v_fma_f16 v15, v6, s2, v5
	v_fma_f16 v5, v6, s3, v5
	v_add_f16_e32 v6, v2, v19
	v_fma_f16 v2, v16, -0.5, v2
	v_sub_f16_e32 v16, v7, v17
	v_add_f16_e32 v4, v4, v18
	v_fma_f16 v18, v16, s3, v2
	v_fma_f16 v2, v16, s2, v2
	v_add_f16_e32 v16, v26, v7
	v_add_f16_e32 v7, v7, v17
	;; [unrolled: 1-line block ×3, first 2 shown]
	v_fma_f16 v7, v7, -0.5, v26
	v_sub_f16_e32 v17, v19, v20
	v_pack_b32_f16 v0, v0, v3
	v_add_f16_e32 v6, v6, v20
	v_fma_f16 v19, v17, s2, v7
	v_fma_f16 v7, v17, s3, v7
	v_pack_b32_f16 v17, v21, v22
	v_pack_b32_f16 v13, v23, v13
	ds_write_b32 v33, v0 offset:1512
	v_pack_b32_f16 v0, v4, v14
	v_pack_b32_f16 v1, v1, v5
	ds_write_b32 v33, v13 offset:756
	ds_write2_b32 v33, v17, v0 offset1:63
	ds_write_b32 v33, v1 offset:1764
	v_pack_b32_f16 v1, v6, v16
	v_pack_b32_f16 v0, v24, v15
	ds_write_b32 v33, v1 offset:504
	v_pack_b32_f16 v1, v18, v19
	ds_write2_b32 v12, v0, v1 offset0:124 offset1:187
	v_pack_b32_f16 v0, v2, v7
	ds_write_b32 v33, v0 offset:2016
	s_waitcnt lgkmcnt(0)
	; wave barrier
	s_waitcnt lgkmcnt(0)
	ds_read2_b32 v[0:1], v33 offset1:81
	s_mov_b32 s12, 0x8eac7900
	s_mov_b32 s13, 0x3f5ce55c
	v_mad_u64_u32 v[3:4], s[2:3], s10, v10, 0
	s_waitcnt lgkmcnt(0)
	v_lshrrev_b32_e32 v7, 16, v0
	v_mul_f16_sdwa v2, v41, v7 dst_sel:DWORD dst_unused:UNUSED_PAD src0_sel:WORD_1 src1_sel:DWORD
	v_fma_f16 v2, v41, v0, v2
	v_cvt_f32_f16_e32 v2, v2
	s_movk_i32 s10, 0x1ff
	v_mul_f16_sdwa v0, v41, v0 dst_sel:DWORD dst_unused:UNUSED_PAD src0_sel:WORD_1 src1_sel:DWORD
	v_fma_f16 v0, v41, v7, -v0
	v_cvt_f64_f32_e32 v[5:6], v2
	v_mov_b32_e32 v2, v4
	v_mad_u64_u32 v[13:14], s[2:3], s11, v10, v[2:3]
	v_mul_f64 v[5:6], v[5:6], s[12:13]
	s_movk_i32 s11, 0xffe
	v_mov_b32_e32 v4, v13
	v_cvt_f32_f16_e32 v0, v0
	s_movk_i32 s14, 0x40f
	s_mov_b32 s15, 0x8000
	v_lshlrev_b64 v[3:4], 2, v[3:4]
	v_and_or_b32 v2, v6, s10, v5
	v_cmp_ne_u32_e32 vcc, 0, v2
	v_cndmask_b32_e64 v2, 0, 1, vcc
	v_lshrrev_b32_e32 v5, 8, v6
	v_bfe_u32 v10, v6, 20, 11
	v_and_or_b32 v5, v5, s11, v2
	v_sub_u32_e32 v13, 0x3f1, v10
	v_or_b32_e32 v2, 0x1000, v5
	v_med3_i32 v13, v13, 0, 13
	v_lshrrev_b32_e32 v14, v13, v2
	v_lshlrev_b32_e32 v13, v13, v14
	v_cmp_ne_u32_e32 vcc, v13, v2
	v_cndmask_b32_e64 v2, 0, 1, vcc
	v_add_u32_e32 v10, 0xfffffc10, v10
	v_or_b32_e32 v2, v14, v2
	v_lshl_or_b32 v13, v10, 12, v5
	v_cmp_gt_i32_e32 vcc, 1, v10
	v_cndmask_b32_e32 v2, v13, v2, vcc
	v_and_b32_e32 v13, 7, v2
	v_cmp_lt_i32_e32 vcc, 5, v13
	v_cmp_eq_u32_e64 s[2:3], 3, v13
	v_cvt_f64_f32_e32 v[13:14], v0
	v_lshrrev_b32_e32 v2, 2, v2
	s_or_b64 vcc, s[2:3], vcc
	v_addc_co_u32_e32 v7, vcc, 0, v2, vcc
	v_mul_f64 v[13:14], v[13:14], s[12:13]
	v_mov_b32_e32 v2, 0x7c00
	v_cmp_gt_i32_e32 vcc, 31, v10
	v_cndmask_b32_e32 v0, v2, v7, vcc
	v_cmp_ne_u32_e32 vcc, 0, v5
	v_cndmask_b32_e64 v5, 0, 1, vcc
	v_lshl_or_b32 v5, v5, 9, v2
	v_cmp_eq_u32_e32 vcc, s14, v10
	v_cndmask_b32_e32 v0, v0, v5, vcc
	v_lshrrev_b32_e32 v5, 16, v6
	v_and_or_b32 v10, v5, s15, v0
	v_and_or_b32 v0, v14, s10, v13
	v_cmp_ne_u32_e32 vcc, 0, v0
	v_cndmask_b32_e64 v0, 0, 1, vcc
	v_lshrrev_b32_e32 v5, 8, v14
	v_bfe_u32 v6, v14, 20, 11
	v_and_or_b32 v0, v5, s11, v0
	v_sub_u32_e32 v7, 0x3f1, v6
	v_or_b32_e32 v5, 0x1000, v0
	v_med3_i32 v7, v7, 0, 13
	v_lshrrev_b32_e32 v13, v7, v5
	v_lshlrev_b32_e32 v7, v7, v13
	v_cmp_ne_u32_e32 vcc, v7, v5
	v_cndmask_b32_e64 v5, 0, 1, vcc
	v_add_u32_e32 v7, 0xfffffc10, v6
	v_or_b32_e32 v5, v13, v5
	v_lshl_or_b32 v6, v7, 12, v0
	v_cmp_gt_i32_e32 vcc, 1, v7
	v_cndmask_b32_e32 v5, v6, v5, vcc
	v_and_b32_e32 v6, 7, v5
	v_cmp_lt_i32_e32 vcc, 5, v6
	v_cmp_eq_u32_e64 s[2:3], 3, v6
	v_lshrrev_b32_e32 v5, 2, v5
	s_or_b64 vcc, s[2:3], vcc
	v_addc_co_u32_e32 v5, vcc, 0, v5, vcc
	v_cmp_gt_i32_e32 vcc, 31, v7
	v_cndmask_b32_e32 v13, v2, v5, vcc
	v_mad_u64_u32 v[5:6], s[2:3], s8, v40, 0
	v_cmp_ne_u32_e32 vcc, 0, v0
	v_cndmask_b32_e64 v0, 0, 1, vcc
	v_lshl_or_b32 v0, v0, 9, v2
	v_cmp_eq_u32_e32 vcc, s14, v7
	v_cndmask_b32_e32 v13, v13, v0, vcc
	v_mov_b32_e32 v0, v6
	v_mad_u64_u32 v[6:7], s[2:3], s9, v40, v[0:1]
	v_lshrrev_b32_e32 v0, 16, v1
	v_mul_f16_sdwa v7, v39, v0 dst_sel:DWORD dst_unused:UNUSED_PAD src0_sel:WORD_1 src1_sel:DWORD
	v_fma_f16 v7, v39, v1, v7
	v_cvt_f32_f16_e32 v7, v7
	v_lshrrev_b32_e32 v14, 16, v14
	v_and_or_b32 v15, v14, s15, v13
	v_and_b32_e32 v10, 0xffff, v10
	v_cvt_f64_f32_e32 v[13:14], v7
	v_lshl_or_b32 v7, v15, 16, v10
	v_mov_b32_e32 v10, s7
	v_add_co_u32_e32 v15, vcc, s6, v3
	v_mul_f64 v[13:14], v[13:14], s[12:13]
	v_addc_co_u32_e32 v10, vcc, v10, v4, vcc
	v_lshlrev_b64 v[3:4], 2, v[5:6]
	v_mul_f16_sdwa v1, v39, v1 dst_sel:DWORD dst_unused:UNUSED_PAD src0_sel:WORD_1 src1_sel:DWORD
	v_add_co_u32_e32 v3, vcc, v15, v3
	v_addc_co_u32_e32 v4, vcc, v10, v4, vcc
	v_and_or_b32 v5, v14, s10, v13
	v_cmp_ne_u32_e32 vcc, 0, v5
	v_fma_f16 v0, v39, v0, -v1
	global_store_dword v[3:4], v7, off
	v_cndmask_b32_e64 v5, 0, 1, vcc
	v_lshrrev_b32_e32 v6, 8, v14
	v_bfe_u32 v7, v14, 20, 11
	v_cvt_f32_f16_e32 v0, v0
	v_and_or_b32 v5, v6, s11, v5
	v_sub_u32_e32 v10, 0x3f1, v7
	v_or_b32_e32 v6, 0x1000, v5
	v_med3_i32 v10, v10, 0, 13
	v_lshrrev_b32_e32 v13, v10, v6
	v_lshlrev_b32_e32 v10, v10, v13
	v_cvt_f64_f32_e32 v[0:1], v0
	v_cmp_ne_u32_e32 vcc, v10, v6
	v_cndmask_b32_e64 v6, 0, 1, vcc
	v_add_u32_e32 v7, 0xfffffc10, v7
	v_or_b32_e32 v6, v13, v6
	v_lshl_or_b32 v10, v7, 12, v5
	v_cmp_gt_i32_e32 vcc, 1, v7
	v_cndmask_b32_e32 v6, v10, v6, vcc
	v_mul_f64 v[0:1], v[0:1], s[12:13]
	v_and_b32_e32 v10, 7, v6
	v_cmp_lt_i32_e32 vcc, 5, v10
	v_cmp_eq_u32_e64 s[2:3], 3, v10
	v_lshrrev_b32_e32 v6, 2, v6
	s_or_b64 vcc, s[2:3], vcc
	v_addc_co_u32_e32 v6, vcc, 0, v6, vcc
	v_cmp_gt_i32_e32 vcc, 31, v7
	v_cndmask_b32_e32 v6, v2, v6, vcc
	v_cmp_ne_u32_e32 vcc, 0, v5
	v_cndmask_b32_e64 v5, 0, 1, vcc
	v_lshl_or_b32 v5, v5, 9, v2
	v_cmp_eq_u32_e32 vcc, s14, v7
	v_and_or_b32 v0, v1, s10, v0
	v_cndmask_b32_e32 v5, v6, v5, vcc
	v_lshrrev_b32_e32 v6, 16, v14
	v_cmp_ne_u32_e32 vcc, 0, v0
	v_and_or_b32 v7, v6, s15, v5
	v_cndmask_b32_e64 v0, 0, 1, vcc
	v_lshrrev_b32_e32 v5, 8, v1
	v_bfe_u32 v6, v1, 20, 11
	v_and_or_b32 v0, v5, s11, v0
	v_sub_u32_e32 v10, 0x3f1, v6
	v_or_b32_e32 v5, 0x1000, v0
	v_med3_i32 v10, v10, 0, 13
	v_lshrrev_b32_e32 v13, v10, v5
	v_lshlrev_b32_e32 v10, v10, v13
	v_cmp_ne_u32_e32 vcc, v10, v5
	v_cndmask_b32_e64 v5, 0, 1, vcc
	v_add_u32_e32 v10, 0xfffffc10, v6
	v_or_b32_e32 v5, v13, v5
	v_lshl_or_b32 v6, v10, 12, v0
	v_cmp_gt_i32_e32 vcc, 1, v10
	v_cndmask_b32_e32 v5, v6, v5, vcc
	v_and_b32_e32 v6, 7, v5
	v_cmp_lt_i32_e32 vcc, 5, v6
	v_cmp_eq_u32_e64 s[2:3], 3, v6
	v_lshrrev_b32_e32 v5, 2, v5
	s_or_b64 vcc, s[2:3], vcc
	v_addc_co_u32_e32 v5, vcc, 0, v5, vcc
	v_cmp_gt_i32_e32 vcc, 31, v10
	v_cndmask_b32_e32 v13, v2, v5, vcc
	ds_read2_b32 v[5:6], v33 offset0:162 offset1:243
	v_cmp_ne_u32_e32 vcc, 0, v0
	v_cndmask_b32_e64 v0, 0, 1, vcc
	v_lshl_or_b32 v0, v0, 9, v2
	v_cmp_eq_u32_e32 vcc, s14, v10
	v_cndmask_b32_e32 v0, v13, v0, vcc
	v_lshrrev_b32_e32 v1, 16, v1
	s_waitcnt lgkmcnt(0)
	v_lshrrev_b32_e32 v15, 16, v5
	v_and_or_b32 v10, v1, s15, v0
	v_mul_f16_sdwa v0, v38, v15 dst_sel:DWORD dst_unused:UNUSED_PAD src0_sel:WORD_1 src1_sel:DWORD
	v_fma_f16 v0, v38, v5, v0
	v_cvt_f32_f16_e32 v0, v0
	s_mul_i32 s2, s9, 0x51
	s_mul_hi_u32 s3, s8, 0x51
	s_add_i32 s3, s3, s2
	v_cvt_f64_f32_e32 v[0:1], v0
	s_mul_i32 s2, s8, 0x51
	s_lshl_b64 s[6:7], s[2:3], 2
	v_add_co_u32_e32 v3, vcc, s6, v3
	v_mul_f64 v[13:14], v[0:1], s[12:13]
	v_mov_b32_e32 v1, s7
	v_and_b32_e32 v7, 0xffff, v7
	v_addc_co_u32_e32 v4, vcc, v4, v1, vcc
	v_lshl_or_b32 v7, v10, 16, v7
	global_store_dword v[3:4], v7, off
	v_mul_f16_sdwa v5, v38, v5 dst_sel:DWORD dst_unused:UNUSED_PAD src0_sel:WORD_1 src1_sel:DWORD
	v_and_or_b32 v0, v14, s10, v13
	v_cmp_ne_u32_e32 vcc, 0, v0
	v_cndmask_b32_e64 v0, 0, 1, vcc
	v_lshrrev_b32_e32 v7, 8, v14
	v_bfe_u32 v10, v14, 20, 11
	v_and_or_b32 v0, v7, s11, v0
	v_sub_u32_e32 v13, 0x3f1, v10
	v_or_b32_e32 v7, 0x1000, v0
	v_med3_i32 v13, v13, 0, 13
	v_fma_f16 v5, v38, v15, -v5
	v_lshrrev_b32_e32 v16, v13, v7
	v_cvt_f32_f16_e32 v5, v5
	v_lshlrev_b32_e32 v13, v13, v16
	v_cmp_ne_u32_e32 vcc, v13, v7
	v_cndmask_b32_e64 v7, 0, 1, vcc
	v_or_b32_e32 v7, v16, v7
	v_add_u32_e32 v10, 0xfffffc10, v10
	v_cvt_f64_f32_e32 v[15:16], v5
	v_lshl_or_b32 v13, v10, 12, v0
	v_cmp_gt_i32_e32 vcc, 1, v10
	v_cndmask_b32_e32 v7, v13, v7, vcc
	v_and_b32_e32 v13, 7, v7
	v_cmp_lt_i32_e32 vcc, 5, v13
	v_cmp_eq_u32_e64 s[2:3], 3, v13
	v_mul_f64 v[15:16], v[15:16], s[12:13]
	v_lshrrev_b32_e32 v7, 2, v7
	s_or_b64 vcc, s[2:3], vcc
	v_addc_co_u32_e32 v5, vcc, 0, v7, vcc
	v_cmp_gt_i32_e32 vcc, 31, v10
	v_cndmask_b32_e32 v5, v2, v5, vcc
	v_cmp_ne_u32_e32 vcc, 0, v0
	v_cndmask_b32_e64 v0, 0, 1, vcc
	v_lshl_or_b32 v0, v0, 9, v2
	v_cmp_eq_u32_e32 vcc, s14, v10
	v_cndmask_b32_e32 v0, v5, v0, vcc
	v_lshrrev_b32_e32 v5, 16, v14
	v_and_or_b32 v0, v5, s15, v0
	v_and_or_b32 v5, v16, s10, v15
	v_cmp_ne_u32_e32 vcc, 0, v5
	v_cndmask_b32_e64 v5, 0, 1, vcc
	v_lshrrev_b32_e32 v7, 8, v16
	v_bfe_u32 v10, v16, 20, 11
	v_and_or_b32 v5, v7, s11, v5
	v_sub_u32_e32 v13, 0x3f1, v10
	v_or_b32_e32 v7, 0x1000, v5
	v_med3_i32 v13, v13, 0, 13
	v_lshrrev_b32_e32 v14, v13, v7
	v_lshlrev_b32_e32 v13, v13, v14
	v_cmp_ne_u32_e32 vcc, v13, v7
	v_cndmask_b32_e64 v7, 0, 1, vcc
	v_add_u32_e32 v10, 0xfffffc10, v10
	v_or_b32_e32 v7, v14, v7
	v_lshl_or_b32 v13, v10, 12, v5
	v_cmp_gt_i32_e32 vcc, 1, v10
	v_cndmask_b32_e32 v7, v13, v7, vcc
	v_and_b32_e32 v13, 7, v7
	v_lshrrev_b32_e32 v15, 16, v6
	v_cmp_lt_i32_e32 vcc, 5, v13
	v_cmp_eq_u32_e64 s[2:3], 3, v13
	v_mul_f16_sdwa v13, v37, v15 dst_sel:DWORD dst_unused:UNUSED_PAD src0_sel:WORD_1 src1_sel:DWORD
	v_fma_f16 v13, v37, v6, v13
	v_cvt_f32_f16_e32 v13, v13
	v_lshrrev_b32_e32 v7, 2, v7
	s_or_b64 vcc, s[2:3], vcc
	v_addc_co_u32_e32 v7, vcc, 0, v7, vcc
	v_cvt_f64_f32_e32 v[13:14], v13
	v_cmp_gt_i32_e32 vcc, 31, v10
	v_cndmask_b32_e32 v7, v2, v7, vcc
	v_cmp_ne_u32_e32 vcc, 0, v5
	v_mul_f64 v[13:14], v[13:14], s[12:13]
	v_cndmask_b32_e64 v5, 0, 1, vcc
	v_lshl_or_b32 v5, v5, 9, v2
	v_cmp_eq_u32_e32 vcc, s14, v10
	v_cndmask_b32_e32 v5, v7, v5, vcc
	v_lshrrev_b32_e32 v7, 16, v16
	v_and_or_b32 v5, v7, s15, v5
	v_and_b32_e32 v0, 0xffff, v0
	v_add_co_u32_e32 v3, vcc, s6, v3
	v_lshl_or_b32 v0, v5, 16, v0
	v_addc_co_u32_e32 v4, vcc, v4, v1, vcc
	global_store_dword v[3:4], v0, off
	v_and_or_b32 v0, v14, s10, v13
	v_cmp_ne_u32_e32 vcc, 0, v0
	v_cndmask_b32_e64 v0, 0, 1, vcc
	v_lshrrev_b32_e32 v5, 8, v14
	v_bfe_u32 v7, v14, 20, 11
	v_and_or_b32 v0, v5, s11, v0
	v_sub_u32_e32 v10, 0x3f1, v7
	v_or_b32_e32 v5, 0x1000, v0
	v_med3_i32 v10, v10, 0, 13
	v_lshrrev_b32_e32 v13, v10, v5
	v_lshlrev_b32_e32 v10, v10, v13
	v_mul_f16_sdwa v6, v37, v6 dst_sel:DWORD dst_unused:UNUSED_PAD src0_sel:WORD_1 src1_sel:DWORD
	v_cmp_ne_u32_e32 vcc, v10, v5
	v_fma_f16 v6, v37, v15, -v6
	v_cndmask_b32_e64 v5, 0, 1, vcc
	v_add_u32_e32 v7, 0xfffffc10, v7
	v_cvt_f32_f16_e32 v6, v6
	v_or_b32_e32 v5, v13, v5
	v_lshl_or_b32 v10, v7, 12, v0
	v_cmp_gt_i32_e32 vcc, 1, v7
	v_cndmask_b32_e32 v5, v10, v5, vcc
	v_and_b32_e32 v10, 7, v5
	v_cmp_lt_i32_e32 vcc, 5, v10
	v_cmp_eq_u32_e64 s[2:3], 3, v10
	v_lshrrev_b32_e32 v10, 2, v5
	v_cvt_f64_f32_e32 v[5:6], v6
	s_or_b64 vcc, s[2:3], vcc
	v_addc_co_u32_e32 v10, vcc, 0, v10, vcc
	v_mul_f64 v[5:6], v[5:6], s[12:13]
	v_cmp_gt_i32_e32 vcc, 31, v7
	v_cndmask_b32_e32 v10, v2, v10, vcc
	v_cmp_ne_u32_e32 vcc, 0, v0
	v_cndmask_b32_e64 v0, 0, 1, vcc
	v_lshl_or_b32 v0, v0, 9, v2
	v_cmp_eq_u32_e32 vcc, s14, v7
	v_cndmask_b32_e32 v0, v10, v0, vcc
	v_and_or_b32 v5, v6, s10, v5
	v_lshrrev_b32_e32 v7, 16, v14
	v_cmp_ne_u32_e32 vcc, 0, v5
	v_and_or_b32 v0, v7, s15, v0
	v_cndmask_b32_e64 v5, 0, 1, vcc
	v_lshrrev_b32_e32 v7, 8, v6
	v_bfe_u32 v10, v6, 20, 11
	v_and_or_b32 v5, v7, s11, v5
	v_sub_u32_e32 v13, 0x3f1, v10
	v_or_b32_e32 v7, 0x1000, v5
	v_med3_i32 v13, v13, 0, 13
	v_lshrrev_b32_e32 v14, v13, v7
	v_lshlrev_b32_e32 v13, v13, v14
	v_cmp_ne_u32_e32 vcc, v13, v7
	v_cndmask_b32_e64 v7, 0, 1, vcc
	v_add_u32_e32 v10, 0xfffffc10, v10
	v_or_b32_e32 v7, v14, v7
	v_lshl_or_b32 v13, v10, 12, v5
	v_cmp_gt_i32_e32 vcc, 1, v10
	v_cndmask_b32_e32 v7, v13, v7, vcc
	v_and_b32_e32 v13, 7, v7
	v_cmp_lt_i32_e32 vcc, 5, v13
	v_cmp_eq_u32_e64 s[2:3], 3, v13
	ds_read2_b32 v[13:14], v11 offset0:68 offset1:149
	v_lshrrev_b32_e32 v7, 2, v7
	s_or_b64 vcc, s[2:3], vcc
	v_addc_co_u32_e32 v7, vcc, 0, v7, vcc
	s_waitcnt lgkmcnt(0)
	v_lshrrev_b32_e32 v17, 16, v13
	v_mul_f16_sdwa v15, v36, v17 dst_sel:DWORD dst_unused:UNUSED_PAD src0_sel:WORD_1 src1_sel:DWORD
	v_fma_f16 v15, v36, v13, v15
	v_cvt_f32_f16_e32 v15, v15
	v_cmp_gt_i32_e32 vcc, 31, v10
	v_cndmask_b32_e32 v7, v2, v7, vcc
	v_cmp_ne_u32_e32 vcc, 0, v5
	v_cvt_f64_f32_e32 v[15:16], v15
	v_cndmask_b32_e64 v5, 0, 1, vcc
	v_lshl_or_b32 v5, v5, 9, v2
	v_cmp_eq_u32_e32 vcc, s14, v10
	v_cndmask_b32_e32 v5, v7, v5, vcc
	v_lshrrev_b32_e32 v6, 16, v6
	v_and_or_b32 v7, v6, s15, v5
	v_mul_f64 v[5:6], v[15:16], s[12:13]
	v_and_b32_e32 v0, 0xffff, v0
	v_add_co_u32_e32 v3, vcc, s6, v3
	v_lshl_or_b32 v0, v7, 16, v0
	v_addc_co_u32_e32 v4, vcc, v4, v1, vcc
	global_store_dword v[3:4], v0, off
	v_and_or_b32 v0, v6, s10, v5
	v_cmp_ne_u32_e32 vcc, 0, v0
	v_cndmask_b32_e64 v0, 0, 1, vcc
	v_lshrrev_b32_e32 v5, 8, v6
	v_bfe_u32 v7, v6, 20, 11
	v_and_or_b32 v0, v5, s11, v0
	v_sub_u32_e32 v10, 0x3f1, v7
	v_mul_f16_sdwa v13, v36, v13 dst_sel:DWORD dst_unused:UNUSED_PAD src0_sel:WORD_1 src1_sel:DWORD
	v_or_b32_e32 v5, 0x1000, v0
	v_med3_i32 v10, v10, 0, 13
	v_fma_f16 v13, v36, v17, -v13
	v_lshrrev_b32_e32 v15, v10, v5
	v_cvt_f32_f16_e32 v13, v13
	v_lshlrev_b32_e32 v10, v10, v15
	v_cmp_ne_u32_e32 vcc, v10, v5
	v_cndmask_b32_e64 v5, 0, 1, vcc
	v_or_b32_e32 v5, v15, v5
	v_add_u32_e32 v7, 0xfffffc10, v7
	v_cvt_f64_f32_e32 v[15:16], v13
	v_lshl_or_b32 v10, v7, 12, v0
	v_cmp_gt_i32_e32 vcc, 1, v7
	v_cndmask_b32_e32 v5, v10, v5, vcc
	v_and_b32_e32 v10, 7, v5
	v_cmp_lt_i32_e32 vcc, 5, v10
	v_cmp_eq_u32_e64 s[2:3], 3, v10
	v_mul_f64 v[15:16], v[15:16], s[12:13]
	v_lshrrev_b32_e32 v5, 2, v5
	s_or_b64 vcc, s[2:3], vcc
	v_addc_co_u32_e32 v5, vcc, 0, v5, vcc
	v_cmp_gt_i32_e32 vcc, 31, v7
	v_cndmask_b32_e32 v5, v2, v5, vcc
	v_cmp_ne_u32_e32 vcc, 0, v0
	v_cndmask_b32_e64 v0, 0, 1, vcc
	v_lshl_or_b32 v0, v0, 9, v2
	v_cmp_eq_u32_e32 vcc, s14, v7
	v_cndmask_b32_e32 v0, v5, v0, vcc
	v_lshrrev_b32_e32 v5, 16, v6
	v_and_or_b32 v0, v5, s15, v0
	v_and_or_b32 v5, v16, s10, v15
	v_cmp_ne_u32_e32 vcc, 0, v5
	v_cndmask_b32_e64 v5, 0, 1, vcc
	v_lshrrev_b32_e32 v6, 8, v16
	v_bfe_u32 v7, v16, 20, 11
	v_and_or_b32 v5, v6, s11, v5
	v_sub_u32_e32 v10, 0x3f1, v7
	v_or_b32_e32 v6, 0x1000, v5
	v_med3_i32 v10, v10, 0, 13
	v_lshrrev_b32_e32 v13, v10, v6
	v_lshlrev_b32_e32 v10, v10, v13
	v_cmp_ne_u32_e32 vcc, v10, v6
	v_cndmask_b32_e64 v6, 0, 1, vcc
	v_add_u32_e32 v7, 0xfffffc10, v7
	v_or_b32_e32 v6, v13, v6
	v_lshl_or_b32 v10, v7, 12, v5
	v_cmp_gt_i32_e32 vcc, 1, v7
	v_cndmask_b32_e32 v6, v10, v6, vcc
	v_and_b32_e32 v10, 7, v6
	v_cmp_lt_i32_e32 vcc, 5, v10
	v_cmp_eq_u32_e64 s[2:3], 3, v10
	v_lshrrev_b32_e32 v6, 2, v6
	s_or_b64 vcc, s[2:3], vcc
	v_addc_co_u32_e32 v6, vcc, 0, v6, vcc
	v_cmp_gt_i32_e32 vcc, 31, v7
	v_lshrrev_b32_e32 v13, 16, v14
	v_cndmask_b32_e32 v10, v2, v6, vcc
	v_mul_f16_sdwa v6, v35, v13 dst_sel:DWORD dst_unused:UNUSED_PAD src0_sel:WORD_1 src1_sel:DWORD
	v_fma_f16 v6, v35, v14, v6
	v_cvt_f32_f16_e32 v6, v6
	v_cmp_ne_u32_e32 vcc, 0, v5
	v_cndmask_b32_e64 v5, 0, 1, vcc
	v_lshl_or_b32 v15, v5, 9, v2
	v_cvt_f64_f32_e32 v[5:6], v6
	v_cmp_eq_u32_e32 vcc, s14, v7
	v_cndmask_b32_e32 v7, v10, v15, vcc
	v_lshrrev_b32_e32 v10, 16, v16
	v_mul_f64 v[5:6], v[5:6], s[12:13]
	v_and_or_b32 v7, v10, s15, v7
	v_and_b32_e32 v0, 0xffff, v0
	v_add_co_u32_e32 v3, vcc, s6, v3
	v_lshl_or_b32 v0, v7, 16, v0
	v_addc_co_u32_e32 v4, vcc, v4, v1, vcc
	global_store_dword v[3:4], v0, off
	v_and_or_b32 v0, v6, s10, v5
	v_cmp_ne_u32_e32 vcc, 0, v0
	v_cndmask_b32_e64 v0, 0, 1, vcc
	v_lshrrev_b32_e32 v5, 8, v6
	v_bfe_u32 v7, v6, 20, 11
	v_mul_f16_sdwa v14, v35, v14 dst_sel:DWORD dst_unused:UNUSED_PAD src0_sel:WORD_1 src1_sel:DWORD
	v_and_or_b32 v0, v5, s11, v0
	v_sub_u32_e32 v10, 0x3f1, v7
	v_fma_f16 v13, v35, v13, -v14
	v_or_b32_e32 v5, 0x1000, v0
	v_med3_i32 v10, v10, 0, 13
	v_cvt_f32_f16_e32 v13, v13
	v_lshrrev_b32_e32 v15, v10, v5
	v_lshlrev_b32_e32 v10, v10, v15
	v_cmp_ne_u32_e32 vcc, v10, v5
	v_cndmask_b32_e64 v5, 0, 1, vcc
	v_add_u32_e32 v7, 0xfffffc10, v7
	v_cvt_f64_f32_e32 v[13:14], v13
	v_or_b32_e32 v5, v15, v5
	v_lshl_or_b32 v10, v7, 12, v0
	v_cmp_gt_i32_e32 vcc, 1, v7
	v_cndmask_b32_e32 v5, v10, v5, vcc
	v_and_b32_e32 v10, 7, v5
	v_cmp_lt_i32_e32 vcc, 5, v10
	v_cmp_eq_u32_e64 s[2:3], 3, v10
	v_mul_f64 v[13:14], v[13:14], s[12:13]
	v_lshrrev_b32_e32 v5, 2, v5
	s_or_b64 vcc, s[2:3], vcc
	v_addc_co_u32_e32 v5, vcc, 0, v5, vcc
	v_cmp_gt_i32_e32 vcc, 31, v7
	v_cndmask_b32_e32 v5, v2, v5, vcc
	v_cmp_ne_u32_e32 vcc, 0, v0
	v_cndmask_b32_e64 v0, 0, 1, vcc
	v_lshl_or_b32 v0, v0, 9, v2
	v_cmp_eq_u32_e32 vcc, s14, v7
	v_cndmask_b32_e32 v0, v5, v0, vcc
	v_lshrrev_b32_e32 v5, 16, v6
	v_and_or_b32 v0, v5, s15, v0
	v_and_or_b32 v5, v14, s10, v13
	v_cmp_ne_u32_e32 vcc, 0, v5
	v_cndmask_b32_e64 v5, 0, 1, vcc
	v_lshrrev_b32_e32 v6, 8, v14
	v_bfe_u32 v7, v14, 20, 11
	v_and_or_b32 v5, v6, s11, v5
	v_sub_u32_e32 v10, 0x3f1, v7
	v_or_b32_e32 v6, 0x1000, v5
	v_med3_i32 v10, v10, 0, 13
	v_lshrrev_b32_e32 v13, v10, v6
	v_lshlrev_b32_e32 v10, v10, v13
	v_cmp_ne_u32_e32 vcc, v10, v6
	v_cndmask_b32_e64 v6, 0, 1, vcc
	v_add_u32_e32 v7, 0xfffffc10, v7
	v_or_b32_e32 v6, v13, v6
	v_lshl_or_b32 v10, v7, 12, v5
	v_cmp_gt_i32_e32 vcc, 1, v7
	v_cndmask_b32_e32 v6, v10, v6, vcc
	v_and_b32_e32 v10, 7, v6
	v_cmp_lt_i32_e32 vcc, 5, v10
	v_cmp_eq_u32_e64 s[2:3], 3, v10
	ds_read_b32 v10, v33 offset:1944
	v_lshrrev_b32_e32 v6, 2, v6
	s_or_b64 vcc, s[2:3], vcc
	v_addc_co_u32_e32 v6, vcc, 0, v6, vcc
	v_cmp_gt_i32_e32 vcc, 31, v7
	s_waitcnt lgkmcnt(0)
	v_lshrrev_b32_e32 v15, 16, v10
	v_cndmask_b32_e32 v13, v2, v6, vcc
	v_mul_f16_sdwa v6, v34, v15 dst_sel:DWORD dst_unused:UNUSED_PAD src0_sel:WORD_1 src1_sel:DWORD
	v_fma_f16 v6, v34, v10, v6
	v_cvt_f32_f16_e32 v6, v6
	v_cmp_ne_u32_e32 vcc, 0, v5
	v_cndmask_b32_e64 v5, 0, 1, vcc
	v_lshl_or_b32 v16, v5, 9, v2
	v_cvt_f64_f32_e32 v[5:6], v6
	v_cmp_eq_u32_e32 vcc, s14, v7
	v_cndmask_b32_e32 v7, v13, v16, vcc
	v_lshrrev_b32_e32 v13, 16, v14
	v_mul_f64 v[5:6], v[5:6], s[12:13]
	v_and_or_b32 v7, v13, s15, v7
	v_and_b32_e32 v0, 0xffff, v0
	v_add_co_u32_e32 v3, vcc, s6, v3
	v_lshl_or_b32 v0, v7, 16, v0
	v_addc_co_u32_e32 v4, vcc, v4, v1, vcc
	global_store_dword v[3:4], v0, off
	v_and_or_b32 v0, v6, s10, v5
	v_cmp_ne_u32_e32 vcc, 0, v0
	v_cndmask_b32_e64 v0, 0, 1, vcc
	v_lshrrev_b32_e32 v5, 8, v6
	v_bfe_u32 v7, v6, 20, 11
	v_and_or_b32 v0, v5, s11, v0
	v_sub_u32_e32 v13, 0x3f1, v7
	v_or_b32_e32 v5, 0x1000, v0
	v_med3_i32 v13, v13, 0, 13
	v_lshrrev_b32_e32 v14, v13, v5
	v_lshlrev_b32_e32 v13, v13, v14
	v_mul_f16_sdwa v10, v34, v10 dst_sel:DWORD dst_unused:UNUSED_PAD src0_sel:WORD_1 src1_sel:DWORD
	v_cmp_ne_u32_e32 vcc, v13, v5
	v_fma_f16 v10, v34, v15, -v10
	v_cndmask_b32_e64 v5, 0, 1, vcc
	v_add_u32_e32 v7, 0xfffffc10, v7
	v_cvt_f32_f16_e32 v10, v10
	v_or_b32_e32 v5, v14, v5
	v_lshl_or_b32 v13, v7, 12, v0
	v_cmp_gt_i32_e32 vcc, 1, v7
	v_cndmask_b32_e32 v5, v13, v5, vcc
	v_and_b32_e32 v13, 7, v5
	v_cmp_lt_i32_e32 vcc, 5, v13
	v_cmp_eq_u32_e64 s[2:3], 3, v13
	v_cvt_f64_f32_e32 v[13:14], v10
	v_lshrrev_b32_e32 v5, 2, v5
	s_or_b64 vcc, s[2:3], vcc
	v_addc_co_u32_e32 v5, vcc, 0, v5, vcc
	v_mul_f64 v[13:14], v[13:14], s[12:13]
	v_cmp_gt_i32_e32 vcc, 31, v7
	v_cndmask_b32_e32 v5, v2, v5, vcc
	v_cmp_ne_u32_e32 vcc, 0, v0
	v_cndmask_b32_e64 v0, 0, 1, vcc
	v_lshl_or_b32 v0, v0, 9, v2
	v_cmp_eq_u32_e32 vcc, s14, v7
	v_cndmask_b32_e32 v0, v5, v0, vcc
	v_lshrrev_b32_e32 v5, 16, v6
	v_and_or_b32 v0, v5, s15, v0
	v_and_or_b32 v5, v14, s10, v13
	v_cmp_ne_u32_e32 vcc, 0, v5
	v_cndmask_b32_e64 v5, 0, 1, vcc
	v_lshrrev_b32_e32 v6, 8, v14
	v_bfe_u32 v7, v14, 20, 11
	v_and_or_b32 v5, v6, s11, v5
	v_sub_u32_e32 v10, 0x3f1, v7
	v_or_b32_e32 v6, 0x1000, v5
	v_med3_i32 v10, v10, 0, 13
	v_lshrrev_b32_e32 v13, v10, v6
	v_lshlrev_b32_e32 v10, v10, v13
	v_cmp_ne_u32_e32 vcc, v10, v6
	v_cndmask_b32_e64 v6, 0, 1, vcc
	v_add_u32_e32 v7, 0xfffffc10, v7
	v_or_b32_e32 v6, v13, v6
	v_lshl_or_b32 v10, v7, 12, v5
	v_cmp_gt_i32_e32 vcc, 1, v7
	v_cndmask_b32_e32 v6, v10, v6, vcc
	v_and_b32_e32 v10, 7, v6
	v_cmp_lt_i32_e32 vcc, 5, v10
	v_cmp_eq_u32_e64 s[2:3], 3, v10
	v_lshrrev_b32_e32 v6, 2, v6
	s_or_b64 vcc, s[2:3], vcc
	v_addc_co_u32_e32 v6, vcc, 0, v6, vcc
	v_cmp_gt_i32_e32 vcc, 31, v7
	v_cndmask_b32_e32 v6, v2, v6, vcc
	v_cmp_ne_u32_e32 vcc, 0, v5
	v_cndmask_b32_e64 v5, 0, 1, vcc
	v_lshl_or_b32 v5, v5, 9, v2
	v_cmp_eq_u32_e32 vcc, s14, v7
	v_cndmask_b32_e32 v5, v6, v5, vcc
	v_lshrrev_b32_e32 v6, 16, v14
	v_and_or_b32 v5, v6, s15, v5
	v_and_b32_e32 v0, 0xffff, v0
	v_lshl_or_b32 v5, v5, 16, v0
	v_add_co_u32_e32 v0, vcc, s6, v3
	v_addc_co_u32_e32 v1, vcc, v4, v1, vcc
	global_store_dword v[0:1], v5, off
	s_and_b64 exec, exec, s[0:1]
	s_cbranch_execz .LBB0_15
; %bb.14:
	global_load_dword v5, v[8:9], off offset:252
	global_load_dword v7, v[8:9], off offset:576
	ds_read2_b32 v[3:4], v33 offset0:63 offset1:144
	global_load_dword v17, v[8:9], off offset:900
	global_load_dword v18, v[8:9], off offset:1224
	;; [unrolled: 1-line block ×3, first 2 shown]
	v_mov_b32_e32 v10, 0xfffff964
	v_mad_u64_u32 v[0:1], s[2:3], s8, v10, v[0:1]
	s_waitcnt lgkmcnt(0)
	v_lshrrev_b32_e32 v6, 16, v3
	v_lshrrev_b32_e32 v20, 16, v4
	s_mul_i32 s0, s9, 0xfffff964
	s_sub_i32 s0, s0, s8
	v_add_u32_e32 v1, s0, v1
	s_waitcnt vmcnt(4)
	v_mul_f16_sdwa v13, v6, v5 dst_sel:DWORD dst_unused:UNUSED_PAD src0_sel:DWORD src1_sel:WORD_1
	v_mul_f16_sdwa v14, v3, v5 dst_sel:DWORD dst_unused:UNUSED_PAD src0_sel:DWORD src1_sel:WORD_1
	v_fma_f16 v3, v3, v5, v13
	v_cvt_f32_f16_e32 v3, v3
	s_waitcnt vmcnt(3)
	v_mul_f16_sdwa v13, v20, v7 dst_sel:DWORD dst_unused:UNUSED_PAD src0_sel:DWORD src1_sel:WORD_1
	v_fma_f16 v5, v5, v6, -v14
	v_cvt_f32_f16_e32 v14, v5
	v_cvt_f64_f32_e32 v[5:6], v3
	v_fma_f16 v3, v4, v7, v13
	v_cvt_f32_f16_e32 v3, v3
	v_cvt_f64_f32_e32 v[13:14], v14
	v_mul_f64 v[5:6], v[5:6], s[12:13]
	v_mul_f16_sdwa v4, v4, v7 dst_sel:DWORD dst_unused:UNUSED_PAD src0_sel:DWORD src1_sel:WORD_1
	v_cvt_f64_f32_e32 v[15:16], v3
	v_mul_f64 v[13:14], v[13:14], s[12:13]
	v_fma_f16 v4, v7, v20, -v4
	v_cvt_f32_f16_e32 v4, v4
	v_mul_f64 v[15:16], v[15:16], s[12:13]
	v_and_or_b32 v3, v6, s10, v5
	v_cmp_ne_u32_e32 vcc, 0, v3
	v_lshrrev_b32_e32 v5, 8, v6
	v_and_or_b32 v13, v14, s10, v13
	v_bfe_u32 v10, v6, 20, 11
	v_cndmask_b32_e64 v3, 0, 1, vcc
	v_and_or_b32 v15, v16, s10, v15
	v_cmp_ne_u32_e32 vcc, 0, v13
	v_lshrrev_b32_e32 v21, 8, v14
	v_bfe_u32 v22, v14, 20, 11
	v_bfe_u32 v24, v16, 20, 11
	v_sub_u32_e32 v25, 0x3f1, v10
	v_cndmask_b32_e64 v13, 0, 1, vcc
	v_cmp_ne_u32_e32 vcc, 0, v15
	v_and_or_b32 v3, v5, s11, v3
	v_lshrrev_b32_e32 v23, 8, v16
	v_sub_u32_e32 v26, 0x3f1, v22
	v_cndmask_b32_e64 v15, 0, 1, vcc
	v_sub_u32_e32 v27, 0x3f1, v24
	v_med3_i32 v5, v25, 0, 13
	v_and_or_b32 v13, v21, s11, v13
	v_or_b32_e32 v25, 0x1000, v3
	v_add_u32_e32 v10, 0xfffffc10, v10
	v_med3_i32 v21, v26, 0, 13
	v_and_or_b32 v15, v23, s11, v15
	v_med3_i32 v23, v27, 0, 13
	v_cmp_ne_u32_e32 vcc, 0, v3
	v_or_b32_e32 v27, 0x1000, v13
	v_lshrrev_b32_e32 v31, v5, v25
	v_add_u32_e32 v22, 0xfffffc10, v22
	v_lshl_or_b32 v26, v10, 12, v3
	v_cndmask_b32_e64 v3, 0, 1, vcc
	v_cmp_ne_u32_e32 vcc, 0, v13
	v_or_b32_e32 v29, 0x1000, v15
	v_lshrrev_b32_e32 v32, v21, v27
	v_lshlrev_b32_e32 v5, v5, v31
	v_lshl_or_b32 v28, v22, 12, v13
	v_cndmask_b32_e64 v13, 0, 1, vcc
	v_lshrrev_b32_e32 v34, v23, v29
	v_lshlrev_b32_e32 v21, v21, v32
	v_cmp_ne_u32_e32 vcc, v5, v25
	v_lshlrev_b32_e32 v23, v23, v34
	v_cndmask_b32_e64 v5, 0, 1, vcc
	v_cmp_ne_u32_e32 vcc, v21, v27
	v_cndmask_b32_e64 v21, 0, 1, vcc
	v_cmp_ne_u32_e32 vcc, v23, v29
	v_cndmask_b32_e64 v23, 0, 1, vcc
	v_or_b32_e32 v5, v31, v5
	v_cmp_gt_i32_e32 vcc, 1, v10
	v_cndmask_b32_e32 v5, v26, v5, vcc
	v_or_b32_e32 v21, v32, v21
	v_cmp_gt_i32_e32 vcc, 1, v22
	v_and_b32_e32 v25, 7, v5
	v_cndmask_b32_e32 v21, v28, v21, vcc
	v_cmp_lt_i32_e32 vcc, 5, v25
	v_cmp_eq_u32_e64 s[0:1], 3, v25
	v_lshrrev_b32_e32 v5, 2, v5
	v_and_b32_e32 v26, 7, v21
	s_or_b64 vcc, s[0:1], vcc
	v_cmp_lt_i32_e64 s[2:3], 5, v26
	v_cmp_eq_u32_e64 s[4:5], 3, v26
	v_addc_co_u32_e32 v5, vcc, 0, v5, vcc
	v_lshrrev_b32_e32 v21, 2, v21
	s_or_b64 vcc, s[4:5], s[2:3]
	v_addc_co_u32_e32 v21, vcc, 0, v21, vcc
	v_cmp_gt_i32_e32 vcc, 31, v10
	v_cndmask_b32_e32 v5, v2, v5, vcc
	v_cmp_gt_i32_e32 vcc, 31, v22
	v_lshl_or_b32 v3, v3, 9, v2
	v_cndmask_b32_e32 v21, v2, v21, vcc
	v_cmp_eq_u32_e32 vcc, s14, v10
	v_lshrrev_b32_e32 v6, 16, v6
	v_lshl_or_b32 v13, v13, 9, v2
	v_cndmask_b32_e32 v3, v5, v3, vcc
	v_cmp_eq_u32_e32 vcc, s14, v22
	v_lshrrev_b32_e32 v14, 16, v14
	v_cndmask_b32_e32 v5, v21, v13, vcc
	v_and_or_b32 v3, v6, s15, v3
	v_add_u32_e32 v24, 0xfffffc10, v24
	v_and_or_b32 v5, v14, s15, v5
	v_and_b32_e32 v3, 0xffff, v3
	v_lshl_or_b32 v30, v24, 12, v15
	v_or_b32_e32 v23, v34, v23
	v_lshl_or_b32 v3, v5, 16, v3
	v_cmp_gt_i32_e32 vcc, 1, v24
	global_store_dword v[0:1], v3, off
	v_cndmask_b32_e32 v3, v30, v23, vcc
	v_and_b32_e32 v5, 7, v3
	v_cmp_lt_i32_e32 vcc, 5, v5
	v_cmp_eq_u32_e64 s[0:1], 3, v5
	v_lshrrev_b32_e32 v5, 2, v3
	v_cvt_f64_f32_e32 v[3:4], v4
	s_or_b64 vcc, s[0:1], vcc
	v_addc_co_u32_e32 v5, vcc, 0, v5, vcc
	v_mul_f64 v[3:4], v[3:4], s[12:13]
	v_cmp_gt_i32_e32 vcc, 31, v24
	v_cndmask_b32_e32 v5, v2, v5, vcc
	v_cmp_ne_u32_e32 vcc, 0, v15
	v_cndmask_b32_e64 v6, 0, 1, vcc
	v_lshl_or_b32 v6, v6, 9, v2
	v_cmp_eq_u32_e32 vcc, s14, v24
	v_cndmask_b32_e32 v5, v5, v6, vcc
	v_and_or_b32 v3, v4, s10, v3
	v_lshrrev_b32_e32 v6, 16, v16
	v_cmp_ne_u32_e32 vcc, 0, v3
	v_and_or_b32 v7, v6, s15, v5
	v_cndmask_b32_e64 v3, 0, 1, vcc
	v_lshrrev_b32_e32 v5, 8, v4
	v_bfe_u32 v6, v4, 20, 11
	v_and_or_b32 v3, v5, s11, v3
	v_sub_u32_e32 v10, 0x3f1, v6
	v_or_b32_e32 v5, 0x1000, v3
	v_med3_i32 v10, v10, 0, 13
	v_lshrrev_b32_e32 v13, v10, v5
	v_lshlrev_b32_e32 v10, v10, v13
	v_cmp_ne_u32_e32 vcc, v10, v5
	v_cndmask_b32_e64 v5, 0, 1, vcc
	v_add_u32_e32 v10, 0xfffffc10, v6
	v_or_b32_e32 v5, v13, v5
	v_lshl_or_b32 v6, v10, 12, v3
	v_cmp_gt_i32_e32 vcc, 1, v10
	v_cndmask_b32_e32 v5, v6, v5, vcc
	v_and_b32_e32 v6, 7, v5
	v_cmp_lt_i32_e32 vcc, 5, v6
	v_cmp_eq_u32_e64 s[0:1], 3, v6
	v_lshrrev_b32_e32 v5, 2, v5
	s_or_b64 vcc, s[0:1], vcc
	v_addc_co_u32_e32 v13, vcc, 0, v5, vcc
	ds_read2_b32 v[5:6], v12 offset0:97 offset1:178
	v_cmp_gt_i32_e32 vcc, 31, v10
	v_cndmask_b32_e32 v12, v2, v13, vcc
	v_cmp_ne_u32_e32 vcc, 0, v3
	v_cndmask_b32_e64 v3, 0, 1, vcc
	s_waitcnt lgkmcnt(0)
	v_lshrrev_b32_e32 v14, 16, v5
	s_waitcnt vmcnt(3)
	v_mul_f16_sdwa v13, v14, v17 dst_sel:DWORD dst_unused:UNUSED_PAD src0_sel:DWORD src1_sel:WORD_1
	v_fma_f16 v13, v5, v17, v13
	v_cvt_f32_f16_e32 v13, v13
	v_lshl_or_b32 v3, v3, 9, v2
	v_cmp_eq_u32_e32 vcc, s14, v10
	v_cndmask_b32_e32 v3, v12, v3, vcc
	v_cvt_f64_f32_e32 v[12:13], v13
	v_lshrrev_b32_e32 v4, 16, v4
	v_and_or_b32 v10, v4, s15, v3
	v_mov_b32_e32 v15, s7
	v_mul_f64 v[3:4], v[12:13], s[12:13]
	v_add_co_u32_e32 v0, vcc, s6, v0
	v_and_b32_e32 v7, 0xffff, v7
	v_addc_co_u32_e32 v1, vcc, v1, v15, vcc
	v_lshl_or_b32 v7, v10, 16, v7
	global_store_dword v[0:1], v7, off
	v_and_or_b32 v3, v4, s10, v3
	v_cmp_ne_u32_e32 vcc, 0, v3
	v_cndmask_b32_e64 v3, 0, 1, vcc
	v_lshrrev_b32_e32 v7, 8, v4
	v_bfe_u32 v10, v4, 20, 11
	v_and_or_b32 v3, v7, s11, v3
	v_sub_u32_e32 v12, 0x3f1, v10
	v_or_b32_e32 v7, 0x1000, v3
	v_med3_i32 v12, v12, 0, 13
	v_lshrrev_b32_e32 v13, v12, v7
	v_lshlrev_b32_e32 v12, v12, v13
	v_mul_f16_sdwa v5, v5, v17 dst_sel:DWORD dst_unused:UNUSED_PAD src0_sel:DWORD src1_sel:WORD_1
	v_cmp_ne_u32_e32 vcc, v12, v7
	v_fma_f16 v5, v17, v14, -v5
	v_cndmask_b32_e64 v7, 0, 1, vcc
	v_add_u32_e32 v10, 0xfffffc10, v10
	v_cvt_f32_f16_e32 v5, v5
	v_or_b32_e32 v7, v13, v7
	v_lshl_or_b32 v12, v10, 12, v3
	v_cmp_gt_i32_e32 vcc, 1, v10
	v_cndmask_b32_e32 v7, v12, v7, vcc
	v_and_b32_e32 v12, 7, v7
	v_cmp_lt_i32_e32 vcc, 5, v12
	v_cmp_eq_u32_e64 s[0:1], 3, v12
	v_cvt_f64_f32_e32 v[12:13], v5
	v_lshrrev_b32_e32 v7, 2, v7
	s_or_b64 vcc, s[0:1], vcc
	v_addc_co_u32_e32 v5, vcc, 0, v7, vcc
	v_mul_f64 v[12:13], v[12:13], s[12:13]
	v_cmp_gt_i32_e32 vcc, 31, v10
	v_cndmask_b32_e32 v5, v2, v5, vcc
	v_cmp_ne_u32_e32 vcc, 0, v3
	v_cndmask_b32_e64 v3, 0, 1, vcc
	v_lshl_or_b32 v3, v3, 9, v2
	v_cmp_eq_u32_e32 vcc, s14, v10
	v_cndmask_b32_e32 v3, v5, v3, vcc
	v_lshrrev_b32_e32 v4, 16, v4
	v_and_or_b32 v5, v4, s15, v3
	v_and_or_b32 v3, v13, s10, v12
	v_cmp_ne_u32_e32 vcc, 0, v3
	v_cndmask_b32_e64 v3, 0, 1, vcc
	v_lshrrev_b32_e32 v4, 8, v13
	v_bfe_u32 v7, v13, 20, 11
	v_and_or_b32 v3, v4, s11, v3
	v_sub_u32_e32 v10, 0x3f1, v7
	v_or_b32_e32 v4, 0x1000, v3
	v_med3_i32 v10, v10, 0, 13
	v_lshrrev_b32_e32 v12, v10, v4
	v_lshlrev_b32_e32 v10, v10, v12
	v_cmp_ne_u32_e32 vcc, v10, v4
	v_cndmask_b32_e64 v4, 0, 1, vcc
	v_add_u32_e32 v7, 0xfffffc10, v7
	v_or_b32_e32 v4, v12, v4
	v_lshl_or_b32 v10, v7, 12, v3
	v_cmp_gt_i32_e32 vcc, 1, v7
	v_cndmask_b32_e32 v4, v10, v4, vcc
	v_and_b32_e32 v10, 7, v4
	v_cmp_lt_i32_e32 vcc, 5, v10
	v_cmp_eq_u32_e64 s[0:1], 3, v10
	v_lshrrev_b32_e32 v4, 2, v4
	s_or_b64 vcc, s[0:1], vcc
	v_addc_co_u32_e32 v4, vcc, 0, v4, vcc
	v_cmp_gt_i32_e32 vcc, 31, v7
	v_lshrrev_b32_e32 v12, 16, v6
	v_cndmask_b32_e32 v10, v2, v4, vcc
	s_waitcnt vmcnt(3)
	v_mul_f16_sdwa v4, v12, v18 dst_sel:DWORD dst_unused:UNUSED_PAD src0_sel:DWORD src1_sel:WORD_1
	v_fma_f16 v4, v6, v18, v4
	v_cvt_f32_f16_e32 v4, v4
	v_cmp_ne_u32_e32 vcc, 0, v3
	v_cndmask_b32_e64 v3, 0, 1, vcc
	v_lshl_or_b32 v14, v3, 9, v2
	v_cvt_f64_f32_e32 v[3:4], v4
	v_cmp_eq_u32_e32 vcc, s14, v7
	v_cndmask_b32_e32 v7, v10, v14, vcc
	v_lshrrev_b32_e32 v10, 16, v13
	v_mul_f64 v[3:4], v[3:4], s[12:13]
	v_add_co_u32_e32 v0, vcc, s6, v0
	v_and_or_b32 v7, v10, s15, v7
	v_and_b32_e32 v5, 0xffff, v5
	v_addc_co_u32_e32 v1, vcc, v1, v15, vcc
	v_lshl_or_b32 v5, v7, 16, v5
	v_and_or_b32 v3, v4, s10, v3
	v_cmp_ne_u32_e32 vcc, 0, v3
	global_store_dword v[0:1], v5, off
	v_cndmask_b32_e64 v3, 0, 1, vcc
	v_lshrrev_b32_e32 v5, 8, v4
	v_bfe_u32 v7, v4, 20, 11
	v_and_or_b32 v3, v5, s11, v3
	v_sub_u32_e32 v10, 0x3f1, v7
	v_or_b32_e32 v5, 0x1000, v3
	v_med3_i32 v10, v10, 0, 13
	v_lshrrev_b32_e32 v13, v10, v5
	v_lshlrev_b32_e32 v10, v10, v13
	v_mul_f16_sdwa v6, v6, v18 dst_sel:DWORD dst_unused:UNUSED_PAD src0_sel:DWORD src1_sel:WORD_1
	v_cmp_ne_u32_e32 vcc, v10, v5
	v_fma_f16 v6, v18, v12, -v6
	v_cndmask_b32_e64 v5, 0, 1, vcc
	v_add_u32_e32 v7, 0xfffffc10, v7
	v_cvt_f32_f16_e32 v6, v6
	v_or_b32_e32 v5, v13, v5
	v_lshl_or_b32 v10, v7, 12, v3
	v_cmp_gt_i32_e32 vcc, 1, v7
	v_cndmask_b32_e32 v5, v10, v5, vcc
	v_and_b32_e32 v10, 7, v5
	v_cmp_lt_i32_e32 vcc, 5, v10
	v_cmp_eq_u32_e64 s[0:1], 3, v10
	v_lshrrev_b32_e32 v10, 2, v5
	v_cvt_f64_f32_e32 v[5:6], v6
	s_or_b64 vcc, s[0:1], vcc
	v_addc_co_u32_e32 v10, vcc, 0, v10, vcc
	v_mul_f64 v[5:6], v[5:6], s[12:13]
	v_cmp_gt_i32_e32 vcc, 31, v7
	v_cndmask_b32_e32 v10, v2, v10, vcc
	v_cmp_ne_u32_e32 vcc, 0, v3
	v_cndmask_b32_e64 v3, 0, 1, vcc
	v_lshl_or_b32 v3, v3, 9, v2
	v_cmp_eq_u32_e32 vcc, s14, v7
	v_cndmask_b32_e32 v3, v10, v3, vcc
	v_lshrrev_b32_e32 v4, 16, v4
	v_and_or_b32 v7, v4, s15, v3
	v_and_or_b32 v3, v6, s10, v5
	v_cmp_ne_u32_e32 vcc, 0, v3
	v_cndmask_b32_e64 v3, 0, 1, vcc
	v_lshrrev_b32_e32 v4, 8, v6
	v_and_or_b32 v5, v4, s11, v3
	v_bfe_u32 v4, v6, 20, 11
	v_sub_u32_e32 v10, 0x3f1, v4
	v_or_b32_e32 v3, 0x1000, v5
	v_med3_i32 v10, v10, 0, 13
	v_lshrrev_b32_e32 v12, v10, v3
	v_lshlrev_b32_e32 v10, v10, v12
	v_cmp_ne_u32_e32 vcc, v10, v3
	v_cndmask_b32_e64 v3, 0, 1, vcc
	v_or_b32_e32 v3, v12, v3
	v_add_u32_e32 v12, 0xfffffc10, v4
	v_lshl_or_b32 v4, v12, 12, v5
	v_cmp_gt_i32_e32 vcc, 1, v12
	v_cndmask_b32_e32 v3, v4, v3, vcc
	v_and_b32_e32 v4, 7, v3
	v_cmp_lt_i32_e32 vcc, 5, v4
	v_cmp_eq_u32_e64 s[0:1], 3, v4
	v_lshrrev_b32_e32 v10, 2, v3
	ds_read2_b32 v[3:4], v11 offset0:131 offset1:212
	s_or_b64 vcc, s[0:1], vcc
	v_addc_co_u32_e32 v10, vcc, 0, v10, vcc
	v_cmp_gt_i32_e32 vcc, 31, v12
	s_waitcnt lgkmcnt(0)
	v_lshrrev_b32_e32 v14, 16, v3
	v_cndmask_b32_e32 v13, v2, v10, vcc
	s_waitcnt vmcnt(3)
	v_mul_f16_sdwa v10, v14, v19 dst_sel:DWORD dst_unused:UNUSED_PAD src0_sel:DWORD src1_sel:WORD_1
	v_fma_f16 v10, v3, v19, v10
	v_cvt_f32_f16_e32 v10, v10
	v_cmp_ne_u32_e32 vcc, 0, v5
	v_cndmask_b32_e64 v5, 0, 1, vcc
	v_lshl_or_b32 v5, v5, 9, v2
	v_cvt_f64_f32_e32 v[10:11], v10
	v_cmp_eq_u32_e32 vcc, s14, v12
	v_cndmask_b32_e32 v5, v13, v5, vcc
	v_lshrrev_b32_e32 v6, 16, v6
	v_and_or_b32 v12, v6, s15, v5
	v_mul_f64 v[5:6], v[10:11], s[12:13]
	v_add_co_u32_e32 v0, vcc, s6, v0
	v_and_b32_e32 v7, 0xffff, v7
	v_addc_co_u32_e32 v1, vcc, v1, v15, vcc
	v_lshl_or_b32 v7, v12, 16, v7
	global_store_dword v[0:1], v7, off
	v_and_or_b32 v5, v6, s10, v5
	v_cmp_ne_u32_e32 vcc, 0, v5
	v_cndmask_b32_e64 v5, 0, 1, vcc
	v_lshrrev_b32_e32 v7, 8, v6
	v_bfe_u32 v10, v6, 20, 11
	v_and_or_b32 v5, v7, s11, v5
	v_sub_u32_e32 v11, 0x3f1, v10
	v_or_b32_e32 v7, 0x1000, v5
	v_med3_i32 v11, v11, 0, 13
	v_lshrrev_b32_e32 v12, v11, v7
	v_lshlrev_b32_e32 v11, v11, v12
	v_cmp_ne_u32_e32 vcc, v11, v7
	v_mul_f16_sdwa v3, v3, v19 dst_sel:DWORD dst_unused:UNUSED_PAD src0_sel:DWORD src1_sel:WORD_1
	v_cndmask_b32_e64 v7, 0, 1, vcc
	v_fma_f16 v3, v19, v14, -v3
	v_or_b32_e32 v7, v12, v7
	v_add_u32_e32 v12, 0xfffffc10, v10
	v_cvt_f32_f16_e32 v3, v3
	v_lshl_or_b32 v10, v12, 12, v5
	v_cmp_gt_i32_e32 vcc, 1, v12
	v_cndmask_b32_e32 v7, v10, v7, vcc
	v_and_b32_e32 v10, 7, v7
	v_cmp_lt_i32_e32 vcc, 5, v10
	v_cmp_eq_u32_e64 s[0:1], 3, v10
	v_cvt_f64_f32_e32 v[10:11], v3
	v_lshrrev_b32_e32 v7, 2, v7
	s_or_b64 vcc, s[0:1], vcc
	v_addc_co_u32_e32 v3, vcc, 0, v7, vcc
	v_mul_f64 v[10:11], v[10:11], s[12:13]
	v_cmp_gt_i32_e32 vcc, 31, v12
	v_cndmask_b32_e32 v3, v2, v3, vcc
	v_cmp_ne_u32_e32 vcc, 0, v5
	v_cndmask_b32_e64 v5, 0, 1, vcc
	v_lshl_or_b32 v5, v5, 9, v2
	v_cmp_eq_u32_e32 vcc, s14, v12
	v_cndmask_b32_e32 v3, v3, v5, vcc
	v_lshrrev_b32_e32 v5, 16, v6
	v_and_or_b32 v3, v5, s15, v3
	v_and_or_b32 v5, v11, s10, v10
	v_cmp_ne_u32_e32 vcc, 0, v5
	v_cndmask_b32_e64 v5, 0, 1, vcc
	v_lshrrev_b32_e32 v6, 8, v11
	v_bfe_u32 v7, v11, 20, 11
	v_and_or_b32 v5, v6, s11, v5
	v_sub_u32_e32 v10, 0x3f1, v7
	v_or_b32_e32 v6, 0x1000, v5
	v_med3_i32 v10, v10, 0, 13
	v_lshrrev_b32_e32 v12, v10, v6
	v_lshlrev_b32_e32 v10, v10, v12
	v_cmp_ne_u32_e32 vcc, v10, v6
	v_cndmask_b32_e64 v6, 0, 1, vcc
	v_add_u32_e32 v7, 0xfffffc10, v7
	v_or_b32_e32 v6, v12, v6
	v_lshl_or_b32 v10, v7, 12, v5
	v_cmp_gt_i32_e32 vcc, 1, v7
	v_cndmask_b32_e32 v6, v10, v6, vcc
	v_and_b32_e32 v10, 7, v6
	v_cmp_lt_i32_e32 vcc, 5, v10
	v_cmp_eq_u32_e64 s[0:1], 3, v10
	v_lshrrev_b32_e32 v6, 2, v6
	s_or_b64 vcc, s[0:1], vcc
	v_addc_co_u32_e32 v6, vcc, 0, v6, vcc
	v_cmp_gt_i32_e32 vcc, 31, v7
	v_cndmask_b32_e32 v6, v2, v6, vcc
	v_cmp_ne_u32_e32 vcc, 0, v5
	v_cndmask_b32_e64 v5, 0, 1, vcc
	v_lshl_or_b32 v5, v5, 9, v2
	v_cmp_eq_u32_e32 vcc, s14, v7
	v_cndmask_b32_e32 v5, v6, v5, vcc
	v_lshrrev_b32_e32 v6, 16, v11
	v_and_or_b32 v5, v6, s15, v5
	v_and_b32_e32 v3, 0xffff, v3
	v_add_co_u32_e32 v0, vcc, s6, v0
	v_lshl_or_b32 v3, v5, 16, v3
	v_addc_co_u32_e32 v1, vcc, v1, v15, vcc
	global_store_dword v[0:1], v3, off
	global_load_dword v3, v[8:9], off offset:1872
	v_lshrrev_b32_e32 v7, 16, v4
	s_waitcnt vmcnt(0)
	v_mul_f16_sdwa v5, v7, v3 dst_sel:DWORD dst_unused:UNUSED_PAD src0_sel:DWORD src1_sel:WORD_1
	v_fma_f16 v5, v4, v3, v5
	v_cvt_f32_f16_e32 v5, v5
	v_mul_f16_sdwa v4, v4, v3 dst_sel:DWORD dst_unused:UNUSED_PAD src0_sel:DWORD src1_sel:WORD_1
	v_fma_f16 v3, v3, v7, -v4
	v_cvt_f32_f16_e32 v3, v3
	v_cvt_f64_f32_e32 v[5:6], v5
	v_cvt_f64_f32_e32 v[3:4], v3
	v_mul_f64 v[5:6], v[5:6], s[12:13]
	v_mul_f64 v[3:4], v[3:4], s[12:13]
	v_and_or_b32 v5, v6, s10, v5
	v_cmp_ne_u32_e32 vcc, 0, v5
	v_cndmask_b32_e64 v5, 0, 1, vcc
	v_lshrrev_b32_e32 v10, 8, v6
	v_bfe_u32 v11, v6, 20, 11
	v_and_or_b32 v5, v10, s11, v5
	v_sub_u32_e32 v12, 0x3f1, v11
	v_or_b32_e32 v10, 0x1000, v5
	v_med3_i32 v12, v12, 0, 13
	v_lshrrev_b32_e32 v13, v12, v10
	v_lshlrev_b32_e32 v12, v12, v13
	v_cmp_ne_u32_e32 vcc, v12, v10
	v_cndmask_b32_e64 v10, 0, 1, vcc
	v_add_u32_e32 v11, 0xfffffc10, v11
	v_or_b32_e32 v10, v13, v10
	v_lshl_or_b32 v12, v11, 12, v5
	v_cmp_gt_i32_e32 vcc, 1, v11
	v_cndmask_b32_e32 v10, v12, v10, vcc
	v_and_b32_e32 v12, 7, v10
	v_cmp_lt_i32_e32 vcc, 5, v12
	v_cmp_eq_u32_e64 s[0:1], 3, v12
	v_lshrrev_b32_e32 v7, 2, v10
	s_or_b64 vcc, s[0:1], vcc
	v_addc_co_u32_e32 v7, vcc, 0, v7, vcc
	v_cmp_gt_i32_e32 vcc, 31, v11
	v_cndmask_b32_e32 v7, v2, v7, vcc
	v_cmp_ne_u32_e32 vcc, 0, v5
	v_cndmask_b32_e64 v5, 0, 1, vcc
	v_lshl_or_b32 v5, v5, 9, v2
	v_cmp_eq_u32_e32 vcc, s14, v11
	v_and_or_b32 v3, v4, s10, v3
	v_cndmask_b32_e32 v5, v7, v5, vcc
	v_lshrrev_b32_e32 v6, 16, v6
	v_cmp_ne_u32_e32 vcc, 0, v3
	v_and_or_b32 v5, v6, s15, v5
	v_cndmask_b32_e64 v3, 0, 1, vcc
	v_lshrrev_b32_e32 v6, 8, v4
	v_bfe_u32 v7, v4, 20, 11
	v_and_or_b32 v3, v6, s11, v3
	v_sub_u32_e32 v10, 0x3f1, v7
	v_or_b32_e32 v6, 0x1000, v3
	v_med3_i32 v10, v10, 0, 13
	v_lshrrev_b32_e32 v11, v10, v6
	v_lshlrev_b32_e32 v10, v10, v11
	v_cmp_ne_u32_e32 vcc, v10, v6
	v_cndmask_b32_e64 v6, 0, 1, vcc
	v_add_u32_e32 v7, 0xfffffc10, v7
	v_or_b32_e32 v6, v11, v6
	v_lshl_or_b32 v10, v7, 12, v3
	v_cmp_gt_i32_e32 vcc, 1, v7
	v_cndmask_b32_e32 v6, v10, v6, vcc
	v_and_b32_e32 v10, 7, v6
	v_cmp_lt_i32_e32 vcc, 5, v10
	v_cmp_eq_u32_e64 s[0:1], 3, v10
	v_lshrrev_b32_e32 v6, 2, v6
	s_or_b64 vcc, s[0:1], vcc
	v_addc_co_u32_e32 v6, vcc, 0, v6, vcc
	v_cmp_gt_i32_e32 vcc, 31, v7
	v_cndmask_b32_e32 v6, v2, v6, vcc
	v_cmp_ne_u32_e32 vcc, 0, v3
	v_cndmask_b32_e64 v3, 0, 1, vcc
	v_lshl_or_b32 v3, v3, 9, v2
	v_cmp_eq_u32_e32 vcc, s14, v7
	v_cndmask_b32_e32 v3, v6, v3, vcc
	v_lshrrev_b32_e32 v4, 16, v4
	v_and_or_b32 v3, v4, s15, v3
	v_and_b32_e32 v4, 0xffff, v5
	v_add_co_u32_e32 v0, vcc, s6, v0
	v_lshl_or_b32 v3, v3, 16, v4
	v_addc_co_u32_e32 v1, vcc, v1, v15, vcc
	global_store_dword v[0:1], v3, off
	global_load_dword v5, v[8:9], off offset:2196
	ds_read_b32 v6, v33 offset:2196
	s_waitcnt lgkmcnt(0)
	v_lshrrev_b32_e32 v7, 16, v6
	s_waitcnt vmcnt(0)
	v_mul_f16_sdwa v3, v7, v5 dst_sel:DWORD dst_unused:UNUSED_PAD src0_sel:DWORD src1_sel:WORD_1
	v_fma_f16 v3, v6, v5, v3
	v_cvt_f32_f16_e32 v3, v3
	v_mul_f16_sdwa v6, v6, v5 dst_sel:DWORD dst_unused:UNUSED_PAD src0_sel:DWORD src1_sel:WORD_1
	v_fma_f16 v5, v5, v7, -v6
	v_cvt_f32_f16_e32 v5, v5
	v_cvt_f64_f32_e32 v[3:4], v3
	v_cvt_f64_f32_e32 v[5:6], v5
	v_mul_f64 v[3:4], v[3:4], s[12:13]
	v_mul_f64 v[5:6], v[5:6], s[12:13]
	v_and_or_b32 v3, v4, s10, v3
	v_cmp_ne_u32_e32 vcc, 0, v3
	v_cndmask_b32_e64 v3, 0, 1, vcc
	v_lshrrev_b32_e32 v8, 8, v4
	v_bfe_u32 v9, v4, 20, 11
	v_and_or_b32 v3, v8, s11, v3
	v_sub_u32_e32 v10, 0x3f1, v9
	v_or_b32_e32 v8, 0x1000, v3
	v_med3_i32 v10, v10, 0, 13
	v_lshrrev_b32_e32 v11, v10, v8
	v_lshlrev_b32_e32 v10, v10, v11
	v_cmp_ne_u32_e32 vcc, v10, v8
	v_cndmask_b32_e64 v8, 0, 1, vcc
	v_add_u32_e32 v9, 0xfffffc10, v9
	v_or_b32_e32 v8, v11, v8
	v_lshl_or_b32 v10, v9, 12, v3
	v_cmp_gt_i32_e32 vcc, 1, v9
	v_cndmask_b32_e32 v8, v10, v8, vcc
	v_and_b32_e32 v10, 7, v8
	v_cmp_lt_i32_e32 vcc, 5, v10
	v_cmp_eq_u32_e64 s[0:1], 3, v10
	v_lshrrev_b32_e32 v7, 2, v8
	s_or_b64 vcc, s[0:1], vcc
	v_addc_co_u32_e32 v7, vcc, 0, v7, vcc
	v_cmp_gt_i32_e32 vcc, 31, v9
	v_cndmask_b32_e32 v7, v2, v7, vcc
	v_cmp_ne_u32_e32 vcc, 0, v3
	v_cndmask_b32_e64 v3, 0, 1, vcc
	v_lshl_or_b32 v3, v3, 9, v2
	v_cmp_eq_u32_e32 vcc, s14, v9
	v_cndmask_b32_e32 v3, v7, v3, vcc
	v_lshrrev_b32_e32 v4, 16, v4
	v_and_or_b32 v3, v4, s15, v3
	v_and_or_b32 v4, v6, s10, v5
	v_cmp_ne_u32_e32 vcc, 0, v4
	v_cndmask_b32_e64 v4, 0, 1, vcc
	v_lshrrev_b32_e32 v5, 8, v6
	v_bfe_u32 v7, v6, 20, 11
	v_and_or_b32 v4, v5, s11, v4
	v_sub_u32_e32 v8, 0x3f1, v7
	v_or_b32_e32 v5, 0x1000, v4
	v_med3_i32 v8, v8, 0, 13
	v_lshrrev_b32_e32 v9, v8, v5
	v_lshlrev_b32_e32 v8, v8, v9
	v_cmp_ne_u32_e32 vcc, v8, v5
	v_cndmask_b32_e64 v5, 0, 1, vcc
	v_add_u32_e32 v7, 0xfffffc10, v7
	v_or_b32_e32 v5, v9, v5
	v_lshl_or_b32 v8, v7, 12, v4
	v_cmp_gt_i32_e32 vcc, 1, v7
	v_cndmask_b32_e32 v5, v8, v5, vcc
	v_and_b32_e32 v8, 7, v5
	v_cmp_lt_i32_e32 vcc, 5, v8
	v_cmp_eq_u32_e64 s[0:1], 3, v8
	v_lshrrev_b32_e32 v5, 2, v5
	s_or_b64 vcc, s[0:1], vcc
	v_addc_co_u32_e32 v5, vcc, 0, v5, vcc
	v_cmp_gt_i32_e32 vcc, 31, v7
	v_cndmask_b32_e32 v5, v2, v5, vcc
	v_cmp_ne_u32_e32 vcc, 0, v4
	v_cndmask_b32_e64 v4, 0, 1, vcc
	v_lshl_or_b32 v2, v4, 9, v2
	v_cmp_eq_u32_e32 vcc, s14, v7
	v_cndmask_b32_e32 v2, v5, v2, vcc
	v_lshrrev_b32_e32 v4, 16, v6
	v_and_or_b32 v2, v4, s15, v2
	v_and_b32_e32 v3, 0xffff, v3
	v_add_co_u32_e32 v0, vcc, s6, v0
	v_lshl_or_b32 v2, v2, 16, v3
	v_addc_co_u32_e32 v1, vcc, v1, v15, vcc
	global_store_dword v[0:1], v2, off
.LBB0_15:
	s_endpgm
	.section	.rodata,"a",@progbits
	.p2align	6, 0x0
	.amdhsa_kernel bluestein_single_fwd_len567_dim1_half_op_CI_CI
		.amdhsa_group_segment_fixed_size 2268
		.amdhsa_private_segment_fixed_size 0
		.amdhsa_kernarg_size 104
		.amdhsa_user_sgpr_count 6
		.amdhsa_user_sgpr_private_segment_buffer 1
		.amdhsa_user_sgpr_dispatch_ptr 0
		.amdhsa_user_sgpr_queue_ptr 0
		.amdhsa_user_sgpr_kernarg_segment_ptr 1
		.amdhsa_user_sgpr_dispatch_id 0
		.amdhsa_user_sgpr_flat_scratch_init 0
		.amdhsa_user_sgpr_private_segment_size 0
		.amdhsa_uses_dynamic_stack 0
		.amdhsa_system_sgpr_private_segment_wavefront_offset 0
		.amdhsa_system_sgpr_workgroup_id_x 1
		.amdhsa_system_sgpr_workgroup_id_y 0
		.amdhsa_system_sgpr_workgroup_id_z 0
		.amdhsa_system_sgpr_workgroup_info 0
		.amdhsa_system_vgpr_workitem_id 0
		.amdhsa_next_free_vgpr 62
		.amdhsa_next_free_sgpr 21
		.amdhsa_reserve_vcc 1
		.amdhsa_reserve_flat_scratch 0
		.amdhsa_float_round_mode_32 0
		.amdhsa_float_round_mode_16_64 0
		.amdhsa_float_denorm_mode_32 3
		.amdhsa_float_denorm_mode_16_64 3
		.amdhsa_dx10_clamp 1
		.amdhsa_ieee_mode 1
		.amdhsa_fp16_overflow 0
		.amdhsa_exception_fp_ieee_invalid_op 0
		.amdhsa_exception_fp_denorm_src 0
		.amdhsa_exception_fp_ieee_div_zero 0
		.amdhsa_exception_fp_ieee_overflow 0
		.amdhsa_exception_fp_ieee_underflow 0
		.amdhsa_exception_fp_ieee_inexact 0
		.amdhsa_exception_int_div_zero 0
	.end_amdhsa_kernel
	.text
.Lfunc_end0:
	.size	bluestein_single_fwd_len567_dim1_half_op_CI_CI, .Lfunc_end0-bluestein_single_fwd_len567_dim1_half_op_CI_CI
                                        ; -- End function
	.section	.AMDGPU.csdata,"",@progbits
; Kernel info:
; codeLenInByte = 16824
; NumSgprs: 25
; NumVgprs: 62
; ScratchSize: 0
; MemoryBound: 0
; FloatMode: 240
; IeeeMode: 1
; LDSByteSize: 2268 bytes/workgroup (compile time only)
; SGPRBlocks: 3
; VGPRBlocks: 15
; NumSGPRsForWavesPerEU: 25
; NumVGPRsForWavesPerEU: 62
; Occupancy: 4
; WaveLimiterHint : 1
; COMPUTE_PGM_RSRC2:SCRATCH_EN: 0
; COMPUTE_PGM_RSRC2:USER_SGPR: 6
; COMPUTE_PGM_RSRC2:TRAP_HANDLER: 0
; COMPUTE_PGM_RSRC2:TGID_X_EN: 1
; COMPUTE_PGM_RSRC2:TGID_Y_EN: 0
; COMPUTE_PGM_RSRC2:TGID_Z_EN: 0
; COMPUTE_PGM_RSRC2:TIDIG_COMP_CNT: 0
	.type	__hip_cuid_6e2c2cc292100253,@object ; @__hip_cuid_6e2c2cc292100253
	.section	.bss,"aw",@nobits
	.globl	__hip_cuid_6e2c2cc292100253
__hip_cuid_6e2c2cc292100253:
	.byte	0                               ; 0x0
	.size	__hip_cuid_6e2c2cc292100253, 1

	.ident	"AMD clang version 19.0.0git (https://github.com/RadeonOpenCompute/llvm-project roc-6.4.0 25133 c7fe45cf4b819c5991fe208aaa96edf142730f1d)"
	.section	".note.GNU-stack","",@progbits
	.addrsig
	.addrsig_sym __hip_cuid_6e2c2cc292100253
	.amdgpu_metadata
---
amdhsa.kernels:
  - .args:
      - .actual_access:  read_only
        .address_space:  global
        .offset:         0
        .size:           8
        .value_kind:     global_buffer
      - .actual_access:  read_only
        .address_space:  global
        .offset:         8
        .size:           8
        .value_kind:     global_buffer
      - .actual_access:  read_only
        .address_space:  global
        .offset:         16
        .size:           8
        .value_kind:     global_buffer
      - .actual_access:  read_only
        .address_space:  global
        .offset:         24
        .size:           8
        .value_kind:     global_buffer
      - .actual_access:  read_only
        .address_space:  global
        .offset:         32
        .size:           8
        .value_kind:     global_buffer
      - .offset:         40
        .size:           8
        .value_kind:     by_value
      - .address_space:  global
        .offset:         48
        .size:           8
        .value_kind:     global_buffer
      - .address_space:  global
        .offset:         56
        .size:           8
        .value_kind:     global_buffer
      - .address_space:  global
        .offset:         64
        .size:           8
        .value_kind:     global_buffer
      - .address_space:  global
        .offset:         72
        .size:           8
        .value_kind:     global_buffer
      - .offset:         80
        .size:           4
        .value_kind:     by_value
      - .address_space:  global
        .offset:         88
        .size:           8
        .value_kind:     global_buffer
      - .address_space:  global
        .offset:         96
        .size:           8
        .value_kind:     global_buffer
    .group_segment_fixed_size: 2268
    .kernarg_segment_align: 8
    .kernarg_segment_size: 104
    .language:       OpenCL C
    .language_version:
      - 2
      - 0
    .max_flat_workgroup_size: 63
    .name:           bluestein_single_fwd_len567_dim1_half_op_CI_CI
    .private_segment_fixed_size: 0
    .sgpr_count:     25
    .sgpr_spill_count: 0
    .symbol:         bluestein_single_fwd_len567_dim1_half_op_CI_CI.kd
    .uniform_work_group_size: 1
    .uses_dynamic_stack: false
    .vgpr_count:     62
    .vgpr_spill_count: 0
    .wavefront_size: 64
amdhsa.target:   amdgcn-amd-amdhsa--gfx906
amdhsa.version:
  - 1
  - 2
...

	.end_amdgpu_metadata
